;; amdgpu-corpus repo=ROCm/rocFFT kind=compiled arch=gfx950 opt=O3
	.text
	.amdgcn_target "amdgcn-amd-amdhsa--gfx950"
	.amdhsa_code_object_version 6
	.protected	bluestein_single_back_len1275_dim1_dp_op_CI_CI ; -- Begin function bluestein_single_back_len1275_dim1_dp_op_CI_CI
	.globl	bluestein_single_back_len1275_dim1_dp_op_CI_CI
	.p2align	8
	.type	bluestein_single_back_len1275_dim1_dp_op_CI_CI,@function
bluestein_single_back_len1275_dim1_dp_op_CI_CI: ; @bluestein_single_back_len1275_dim1_dp_op_CI_CI
; %bb.0:
	s_load_dwordx4 s[8:11], s[0:1], 0x28
	v_mul_u32_u24_e32 v1, 0x304, v0
	v_lshrrev_b32_e32 v2, 16, v1
	v_mad_u64_u32 v[242:243], s[2:3], s2, 3, v[2:3]
	v_mov_b32_e32 v241, 0
	v_mov_b32_e32 v243, v241
	s_waitcnt lgkmcnt(0)
	v_cmp_gt_u64_e32 vcc, s[8:9], v[242:243]
	s_and_saveexec_b64 s[2:3], vcc
	s_cbranch_execz .LBB0_15
; %bb.1:
	v_mul_lo_u16_e32 v1, 0x55, v2
	s_mov_b32 s2, 0xaaaaaaab
	v_sub_u16_e32 v240, v0, v1
	v_mul_hi_u32 v0, v242, s2
	s_load_dwordx2 s[8:9], s[0:1], 0x0
	s_load_dwordx2 s[12:13], s[0:1], 0x38
	v_lshrrev_b32_e32 v0, 1, v0
	v_lshl_add_u32 v0, v0, 1, v0
	v_sub_u32_e32 v0, v242, v0
	v_mul_u32_u24_e32 v212, 0x4fb, v0
	s_movk_i32 s2, 0x4b
	v_cmp_gt_u16_e64 s[2:3], s2, v240
	v_lshlrev_b32_e32 v238, 4, v240
	v_lshlrev_b32_e32 v213, 4, v212
	s_and_saveexec_b64 s[14:15], s[2:3]
	s_cbranch_execz .LBB0_3
; %bb.2:
	s_load_dwordx2 s[4:5], s[0:1], 0x18
	v_mov_b32_e32 v0, s10
	v_mov_b32_e32 v1, s11
	;; [unrolled: 1-line block ×3, first 2 shown]
	s_waitcnt lgkmcnt(0)
	v_lshl_add_u64 v[100:101], s[8:9], 0, v[238:239]
	s_load_dwordx4 s[4:7], s[4:5], 0x0
	v_mov_b32_e32 v22, 0x4b0
	v_lshl_add_u32 v140, v240, 4, v213
	s_waitcnt lgkmcnt(0)
	v_mad_u64_u32 v[2:3], s[10:11], s6, v242, 0
	v_mad_u64_u32 v[4:5], s[10:11], s4, v240, 0
	v_mov_b32_e32 v6, v3
	v_mov_b32_e32 v8, v5
	v_mad_u64_u32 v[6:7], s[6:7], s7, v242, v[6:7]
	v_mov_b32_e32 v3, v6
	v_mad_u64_u32 v[6:7], s[6:7], s5, v240, v[8:9]
	s_movk_i32 s6, 0x1000
	s_nop 0
	v_add_co_u32_e32 v40, vcc, s6, v100
	s_movk_i32 s7, 0x2000
	s_nop 0
	v_addc_co_u32_e32 v41, vcc, 0, v101, vcc
	v_mov_b32_e32 v5, v6
	v_lshl_add_u64 v[0:1], v[2:3], 4, v[0:1]
	v_add_co_u32_e32 v60, vcc, s7, v100
	v_lshl_add_u64 v[20:21], v[4:5], 4, v[0:1]
	s_movk_i32 s11, 0x4000
	v_addc_co_u32_e32 v61, vcc, 0, v101, vcc
	global_load_dwordx4 v[0:3], v238, s[8:9]
	global_load_dwordx4 v[4:7], v[20:21], off
	v_add_co_u32_e32 v132, vcc, s11, v100
	s_mul_i32 s11, s5, 0x4b0
	v_mad_u64_u32 v[20:21], s[6:7], s4, v22, v[20:21]
	v_add_u32_e32 v21, s11, v21
	global_load_dwordx4 v[8:11], v238, s[8:9] offset:1200
	global_load_dwordx4 v[12:15], v238, s[8:9] offset:2400
	;; [unrolled: 1-line block ×3, first 2 shown]
	global_load_dwordx4 v[24:27], v[40:41], off offset:704
	global_load_dwordx4 v[28:31], v[40:41], off offset:1904
	;; [unrolled: 1-line block ×4, first 2 shown]
	s_nop 0
	global_load_dwordx4 v[40:43], v[20:21], off
	global_load_dwordx4 v[44:47], v[60:61], off offset:1408
	global_load_dwordx4 v[48:51], v[60:61], off offset:2608
	v_mad_u64_u32 v[20:21], s[6:7], s4, v22, v[20:21]
	v_add_u32_e32 v21, s11, v21
	global_load_dwordx4 v[52:55], v[20:21], off
	global_load_dwordx4 v[56:59], v[60:61], off offset:3808
	v_mad_u64_u32 v[20:21], s[6:7], s4, v22, v[20:21]
	v_add_u32_e32 v21, s11, v21
	v_addc_co_u32_e32 v133, vcc, 0, v101, vcc
	global_load_dwordx4 v[60:63], v[20:21], off
	global_load_dwordx4 v[64:67], v[132:133], off offset:2816
	v_mad_u64_u32 v[20:21], s[6:7], s4, v22, v[20:21]
	v_add_u32_e32 v21, s11, v21
	global_load_dwordx4 v[68:71], v[20:21], off
	v_mad_u64_u32 v[20:21], s[6:7], s4, v22, v[20:21]
	v_add_u32_e32 v21, s11, v21
	global_load_dwordx4 v[72:75], v[20:21], off
	;; [unrolled: 3-line block ×6, first 2 shown]
	v_mad_u64_u32 v[20:21], s[6:7], s4, v22, v[20:21]
	s_movk_i32 s10, 0x3000
	v_add_u32_e32 v21, s11, v21
	global_load_dwordx4 v[92:95], v[20:21], off
	v_mad_u64_u32 v[104:105], s[6:7], s4, v22, v[20:21]
	v_add_co_u32_e32 v116, vcc, s10, v100
	v_add_u32_e32 v105, s11, v105
	s_nop 0
	v_addc_co_u32_e32 v117, vcc, 0, v101, vcc
	global_load_dwordx4 v[96:99], v[104:105], off
	global_load_dwordx4 v[100:103], v[116:117], off offset:912
	v_mad_u64_u32 v[112:113], s[6:7], s4, v22, v[104:105]
	v_add_u32_e32 v113, s11, v113
	global_load_dwordx4 v[104:107], v[112:113], off
	global_load_dwordx4 v[108:111], v[116:117], off offset:2112
	v_mad_u64_u32 v[120:121], s[6:7], s4, v22, v[112:113]
	v_add_u32_e32 v121, s11, v121
	global_load_dwordx4 v[112:115], v[120:121], off
	s_nop 0
	global_load_dwordx4 v[116:119], v[116:117], off offset:3312
	v_mad_u64_u32 v[128:129], s[6:7], s4, v22, v[120:121]
	v_add_u32_e32 v129, s11, v129
	global_load_dwordx4 v[120:123], v[128:129], off
	global_load_dwordx4 v[124:127], v[132:133], off offset:416
	v_mad_u64_u32 v[136:137], s[6:7], s4, v22, v[128:129]
	v_add_u32_e32 v137, s11, v137
	global_load_dwordx4 v[128:131], v[136:137], off
	s_nop 0
	global_load_dwordx4 v[132:135], v[132:133], off offset:1616
	v_mad_u64_u32 v[22:23], s[4:5], s4, v22, v[136:137]
	v_add_u32_e32 v23, s11, v23
	global_load_dwordx4 v[136:139], v[22:23], off
	s_waitcnt vmcnt(32)
	v_mul_f64 v[20:21], v[6:7], v[2:3]
	v_mul_f64 v[2:3], v[4:5], v[2:3]
	v_fmac_f64_e32 v[20:21], v[4:5], v[0:1]
	v_fma_f64 v[22:23], v[6:7], v[0:1], -v[2:3]
	v_add_u32_e32 v4, v213, v238
	ds_write_b128 v140, v[20:23]
	s_waitcnt vmcnt(24)
	v_mul_f64 v[0:1], v[42:43], v[10:11]
	v_mul_f64 v[2:3], v[40:41], v[10:11]
	v_fmac_f64_e32 v[0:1], v[40:41], v[8:9]
	v_fma_f64 v[2:3], v[42:43], v[8:9], -v[2:3]
	ds_write_b128 v4, v[0:3] offset:1200
	s_waitcnt vmcnt(21)
	v_mul_f64 v[0:1], v[54:55], v[14:15]
	v_mul_f64 v[2:3], v[52:53], v[14:15]
	v_fmac_f64_e32 v[0:1], v[52:53], v[12:13]
	v_fma_f64 v[2:3], v[54:55], v[12:13], -v[2:3]
	ds_write_b128 v4, v[0:3] offset:2400
	;; [unrolled: 6-line block ×16, first 2 shown]
.LBB0_3:
	s_or_b64 exec, exec, s[14:15]
	s_load_dwordx2 s[4:5], s[0:1], 0x20
	s_load_dwordx2 s[10:11], s[0:1], 0x8
	s_waitcnt lgkmcnt(0)
	s_barrier
	s_waitcnt lgkmcnt(0)
                                        ; implicit-def: $vgpr8_vgpr9
                                        ; implicit-def: $vgpr12_vgpr13
                                        ; implicit-def: $vgpr16_vgpr17
                                        ; implicit-def: $vgpr20_vgpr21
                                        ; implicit-def: $vgpr24_vgpr25
                                        ; implicit-def: $vgpr28_vgpr29
                                        ; implicit-def: $vgpr32_vgpr33
                                        ; implicit-def: $vgpr36_vgpr37
                                        ; implicit-def: $vgpr40_vgpr41
                                        ; implicit-def: $vgpr44_vgpr45
                                        ; implicit-def: $vgpr48_vgpr49
                                        ; implicit-def: $vgpr52_vgpr53
                                        ; implicit-def: $vgpr56_vgpr57
                                        ; implicit-def: $vgpr60_vgpr61
                                        ; implicit-def: $vgpr64_vgpr65
                                        ; implicit-def: $vgpr68_vgpr69
                                        ; implicit-def: $vgpr72_vgpr73
	s_and_saveexec_b64 s[0:1], s[2:3]
	s_cbranch_execz .LBB0_5
; %bb.4:
	v_lshl_add_u32 v0, v212, 4, v238
	ds_read_b128 v[8:11], v0
	ds_read_b128 v[12:15], v0 offset:1200
	ds_read_b128 v[16:19], v0 offset:2400
	;; [unrolled: 1-line block ×16, first 2 shown]
.LBB0_5:
	s_or_b64 exec, exec, s[0:1]
	s_mov_b32 s24, 0x5d8e7cdc
	s_waitcnt lgkmcnt(0)
	v_add_f64 v[116:117], v[14:15], -v[74:75]
	s_mov_b32 s0, 0x370991
	s_mov_b32 s25, 0xbfd71e95
	;; [unrolled: 1-line block ×3, first 2 shown]
	v_add_f64 v[146:147], v[12:13], v[72:73]
	v_add_f64 v[164:165], v[12:13], -v[72:73]
	s_mov_b32 s1, 0x3fedd6d0
	v_mul_f64 v[0:1], v[116:117], s[24:25]
	s_mov_b32 s14, 0x75d4884
	s_mov_b32 s39, 0xbfe58eea
	v_add_f64 v[118:119], v[18:19], -v[70:71]
	v_add_f64 v[156:157], v[14:15], v[74:75]
	v_mul_f64 v[2:3], v[164:165], s[24:25]
	v_fma_f64 v[4:5], s[0:1], v[146:147], v[0:1]
	s_mov_b32 s15, 0x3fe7a5f6
	v_add_f64 v[166:167], v[16:17], v[68:69]
	v_add_f64 v[188:189], v[16:17], -v[68:69]
	v_mul_f64 v[86:87], v[118:119], s[38:39]
	s_mov_b32 s30, 0xeb564b22
	v_add_f64 v[4:5], v[8:9], v[4:5]
	v_fma_f64 v[6:7], v[156:157], s[0:1], -v[2:3]
	v_mul_f64 v[124:125], v[116:117], s[38:39]
	v_add_f64 v[168:169], v[18:19], v[70:71]
	v_mul_f64 v[88:89], v[188:189], s[38:39]
	v_fma_f64 v[80:81], s[14:15], v[166:167], v[86:87]
	s_mov_b32 s18, 0x3259b75e
	s_mov_b32 s31, 0xbfefdd0d
	v_add_f64 v[6:7], v[10:11], v[6:7]
	v_mul_f64 v[128:129], v[164:165], s[38:39]
	v_fma_f64 v[76:77], s[14:15], v[146:147], v[124:125]
	v_add_f64 v[4:5], v[80:81], v[4:5]
	v_fma_f64 v[80:81], v[168:169], s[14:15], -v[88:89]
	s_mov_b32 s19, 0x3fb79ee6
	v_mul_f64 v[130:131], v[118:119], s[30:31]
	s_mov_b32 s34, 0x7c9e640b
	v_add_f64 v[76:77], v[8:9], v[76:77]
	v_fma_f64 v[78:79], v[156:157], s[14:15], -v[128:129]
	v_add_f64 v[6:7], v[80:81], v[6:7]
	v_mul_f64 v[136:137], v[188:189], s[30:31]
	v_fma_f64 v[80:81], s[18:19], v[166:167], v[130:131]
	v_add_f64 v[220:221], v[22:23], -v[66:67]
	s_mov_b32 s16, 0x2b2883cd
	s_mov_b32 s35, 0xbfeca52d
	v_add_f64 v[78:79], v[10:11], v[78:79]
	v_add_f64 v[76:77], v[80:81], v[76:77]
	v_fma_f64 v[80:81], v[168:169], s[18:19], -v[136:137]
	v_add_f64 v[170:171], v[20:21], v[64:65]
	v_add_f64 v[208:209], v[20:21], -v[64:65]
	s_mov_b32 s17, 0x3fdc86fa
	v_mul_f64 v[126:127], v[220:221], s[34:35]
	s_mov_b32 s36, 0x6c9a05f6
	v_add_f64 v[78:79], v[80:81], v[78:79]
	v_add_f64 v[172:173], v[22:23], v[66:67]
	v_mul_f64 v[132:133], v[208:209], s[34:35]
	v_fma_f64 v[80:81], s[16:17], v[170:171], v[126:127]
	s_mov_b32 s20, 0x6ed5f1bb
	s_mov_b32 s37, 0xbfe9895b
	v_add_f64 v[4:5], v[80:81], v[4:5]
	v_fma_f64 v[80:81], v[172:173], s[16:17], -v[132:133]
	s_mov_b32 s21, 0xbfe348c8
	v_mul_f64 v[140:141], v[220:221], s[36:37]
	v_add_f64 v[6:7], v[80:81], v[6:7]
	v_mul_f64 v[144:145], v[208:209], s[36:37]
	v_fma_f64 v[80:81], s[20:21], v[170:171], v[140:141]
	v_add_f64 v[228:229], v[26:27], -v[62:63]
	v_add_f64 v[76:77], v[80:81], v[76:77]
	v_fma_f64 v[80:81], v[172:173], s[20:21], -v[144:145]
	v_add_f64 v[182:183], v[24:25], v[60:61]
	v_add_f64 v[224:225], v[24:25], -v[60:61]
	v_mul_f64 v[134:135], v[228:229], s[30:31]
	s_mov_b32 s44, 0xacd6c6b4
	v_add_f64 v[78:79], v[80:81], v[78:79]
	v_add_f64 v[184:185], v[26:27], v[62:63]
	v_mul_f64 v[138:139], v[224:225], s[30:31]
	v_fma_f64 v[80:81], s[18:19], v[182:183], v[134:135]
	s_mov_b32 s22, 0x7faef3
	s_mov_b32 s45, 0xbfc7851a
	v_add_f64 v[4:5], v[80:81], v[4:5]
	v_fma_f64 v[80:81], v[184:185], s[18:19], -v[138:139]
	s_mov_b32 s23, 0xbfef7484
	v_mul_f64 v[148:149], v[228:229], s[44:45]
	s_mov_b32 s48, 0x923c349f
	v_add_f64 v[6:7], v[80:81], v[6:7]
	v_mul_f64 v[154:155], v[224:225], s[44:45]
	v_fma_f64 v[80:81], s[22:23], v[182:183], v[148:149]
	v_add_f64 v[230:231], v[30:31], -v[58:59]
	s_mov_b32 s28, 0xc61f0d01
	s_mov_b32 s49, 0xbfeec746
	v_add_f64 v[76:77], v[80:81], v[76:77]
	v_fma_f64 v[80:81], v[184:185], s[22:23], -v[154:155]
	v_add_f64 v[192:193], v[28:29], v[56:57]
	v_add_f64 v[226:227], v[28:29], -v[56:57]
	s_mov_b32 s29, 0xbfd183b1
	v_mul_f64 v[142:143], v[230:231], s[48:49]
	s_mov_b32 s40, 0x4363dd80
	v_add_f64 v[78:79], v[80:81], v[78:79]
	v_add_f64 v[194:195], v[30:31], v[58:59]
	v_mul_f64 v[150:151], v[226:227], s[48:49]
	v_fma_f64 v[80:81], s[28:29], v[192:193], v[142:143]
	s_mov_b32 s26, 0x910ea3b9
	s_mov_b32 s41, 0x3fe0d888
	v_add_f64 v[80:81], v[80:81], v[4:5]
	v_fma_f64 v[4:5], v[194:195], s[28:29], -v[150:151]
	s_mov_b32 s27, 0xbfeb34fa
	v_mul_f64 v[162:163], v[230:231], s[40:41]
	v_add_f64 v[6:7], v[4:5], v[6:7]
	v_mul_f64 v[180:181], v[226:227], s[40:41]
	v_fma_f64 v[4:5], s[26:27], v[192:193], v[162:163]
	v_add_f64 v[76:77], v[4:5], v[76:77]
	v_fma_f64 v[4:5], v[194:195], s[26:27], -v[180:181]
	v_add_f64 v[78:79], v[4:5], v[78:79]
	v_add_f64 v[4:5], v[34:35], -v[54:55]
	v_add_f64 v[202:203], v[32:33], v[52:53]
	v_add_f64 v[232:233], v[32:33], -v[52:53]
	v_mul_f64 v[152:153], v[4:5], s[36:37]
	v_add_f64 v[204:205], v[34:35], v[54:55]
	v_mul_f64 v[158:159], v[232:233], s[36:37]
	v_fma_f64 v[82:83], s[20:21], v[202:203], v[152:153]
	s_mov_b32 s43, 0x3feec746
	s_mov_b32 s42, s48
	v_add_f64 v[80:81], v[82:83], v[80:81]
	v_fma_f64 v[82:83], v[204:205], s[20:21], -v[158:159]
	v_mul_f64 v[178:179], v[4:5], s[42:43]
	v_add_f64 v[82:83], v[82:83], v[6:7]
	v_mul_f64 v[196:197], v[232:233], s[42:43]
	v_fma_f64 v[6:7], s[28:29], v[202:203], v[178:179]
	v_add_f64 v[76:77], v[6:7], v[76:77]
	v_fma_f64 v[6:7], v[204:205], s[28:29], -v[196:197]
	v_add_f64 v[234:235], v[38:39], -v[50:51]
	s_mov_b32 s47, 0xbfe0d888
	s_mov_b32 s46, s40
	v_add_f64 v[78:79], v[6:7], v[78:79]
	v_add_f64 v[206:207], v[36:37], v[48:49]
	v_add_f64 v[6:7], v[36:37], -v[48:49]
	v_mul_f64 v[160:161], v[234:235], s[46:47]
	v_add_f64 v[198:199], v[38:39], v[50:51]
	v_mul_f64 v[174:175], v[6:7], s[46:47]
	v_fma_f64 v[84:85], s[26:27], v[206:207], v[160:161]
	s_mov_b32 s51, 0x3feca52d
	s_mov_b32 s50, s34
	v_add_f64 v[80:81], v[84:85], v[80:81]
	v_fma_f64 v[84:85], v[198:199], s[26:27], -v[174:175]
	v_mul_f64 v[190:191], v[234:235], s[50:51]
	v_add_f64 v[82:83], v[84:85], v[82:83]
	v_mul_f64 v[210:211], v[6:7], s[50:51]
	v_fma_f64 v[84:85], s[16:17], v[206:207], v[190:191]
	v_add_f64 v[214:215], v[42:43], -v[46:47]
	v_add_f64 v[76:77], v[84:85], v[76:77]
	v_fma_f64 v[84:85], v[198:199], s[16:17], -v[210:211]
	v_add_f64 v[216:217], v[40:41], v[44:45]
	v_add_f64 v[236:237], v[40:41], -v[44:45]
	v_mul_f64 v[176:177], v[214:215], s[44:45]
	v_add_f64 v[78:79], v[84:85], v[78:79]
	v_add_f64 v[218:219], v[42:43], v[46:47]
	v_mul_f64 v[186:187], v[236:237], s[44:45]
	v_fma_f64 v[84:85], s[22:23], v[216:217], v[176:177]
	s_mov_b32 s53, 0x3fd71e95
	s_mov_b32 s52, s24
	v_add_f64 v[248:249], v[84:85], v[80:81]
	v_fma_f64 v[80:81], v[218:219], s[22:23], -v[186:187]
	v_mul_f64 v[200:201], v[214:215], s[52:53]
	v_add_f64 v[250:251], v[80:81], v[82:83]
	v_mul_f64 v[222:223], v[236:237], s[52:53]
	v_fma_f64 v[80:81], s[0:1], v[216:217], v[200:201]
	v_add_f64 v[244:245], v[80:81], v[76:77]
	v_fma_f64 v[76:77], v[218:219], s[0:1], -v[222:223]
	v_add_f64 v[246:247], v[76:77], v[78:79]
	s_barrier
	s_and_saveexec_b64 s[6:7], s[2:3]
	s_cbranch_execz .LBB0_7
; %bb.6:
	v_mul_f64 v[104:105], v[156:157], s[22:23]
	s_mov_b32 s55, 0x3fc7851a
	s_mov_b32 s54, s44
	v_mul_f64 v[100:101], v[168:169], s[0:1]
	v_fma_f64 v[106:107], s[54:55], v[164:165], v[104:105]
	v_mul_f64 v[114:115], v[116:117], s[44:45]
	v_mul_f64 v[96:97], v[172:173], s[26:27]
	v_fma_f64 v[102:103], s[24:25], v[188:189], v[100:101]
	v_add_f64 v[106:107], v[10:11], v[106:107]
	v_mul_f64 v[110:111], v[118:119], s[52:53]
	v_accvgpr_write_b32 a0, v238
	v_fma_f64 v[238:239], s[22:23], v[146:147], v[114:115]
	v_accvgpr_write_b32 a20, v88
	v_mul_f64 v[92:93], v[184:185], s[14:15]
	v_fma_f64 v[98:99], s[40:41], v[208:209], v[96:97]
	v_add_f64 v[102:103], v[102:103], v[106:107]
	s_mov_b32 s57, 0x3fe58eea
	s_mov_b32 s56, s38
	v_mul_f64 v[108:109], v[220:221], s[46:47]
	v_fma_f64 v[112:113], s[0:1], v[166:167], v[110:111]
	v_add_f64 v[238:239], v[8:9], v[238:239]
	v_accvgpr_write_b32 a21, v89
	v_mul_f64 v[88:89], v[194:195], s[20:21]
	s_mov_b32 s59, 0x3fe9895b
	s_mov_b32 s58, s36
	v_fma_f64 v[94:95], s[38:39], v[224:225], v[92:93]
	v_add_f64 v[98:99], v[98:99], v[102:103]
	v_mul_f64 v[106:107], v[228:229], s[56:57]
	v_add_f64 v[112:113], v[112:113], v[238:239]
	v_fma_f64 v[238:239], s[26:27], v[170:171], v[108:109]
	v_mul_f64 v[84:85], v[204:205], s[16:17]
	v_accvgpr_write_b32 a18, v86
	v_fma_f64 v[90:91], s[58:59], v[226:227], v[88:89]
	v_add_f64 v[94:95], v[94:95], v[98:99]
	v_mul_f64 v[102:103], v[230:231], s[36:37]
	v_add_f64 v[112:113], v[238:239], v[112:113]
	v_fma_f64 v[238:239], s[14:15], v[182:183], v[106:107]
	v_mul_f64 v[82:83], v[198:199], s[28:29]
	v_accvgpr_write_b32 a19, v87
	v_fma_f64 v[86:87], s[34:35], v[232:233], v[84:85]
	v_add_f64 v[90:91], v[90:91], v[94:95]
	v_mul_f64 v[98:99], v[4:5], s[50:51]
	v_add_f64 v[112:113], v[238:239], v[112:113]
	v_fma_f64 v[238:239], s[20:21], v[192:193], v[102:103]
	v_mul_f64 v[80:81], v[218:219], s[18:19]
	v_fma_f64 v[78:79], s[42:43], v[6:7], v[82:83]
	v_add_f64 v[86:87], v[86:87], v[90:91]
	s_mov_b32 s61, 0x3fefdd0d
	s_mov_b32 s60, s30
	v_mul_f64 v[90:91], v[234:235], s[48:49]
	v_add_f64 v[112:113], v[238:239], v[112:113]
	v_fma_f64 v[238:239], s[16:17], v[202:203], v[98:99]
	v_fma_f64 v[76:77], s[30:31], v[236:237], v[80:81]
	v_add_f64 v[78:79], v[78:79], v[86:87]
	v_mul_f64 v[86:87], v[214:215], s[60:61]
	v_fma_f64 v[94:95], s[28:29], v[206:207], v[90:91]
	v_add_f64 v[112:113], v[238:239], v[112:113]
	v_add_f64 v[78:79], v[76:77], v[78:79]
	v_fma_f64 v[76:77], s[18:19], v[216:217], v[86:87]
	v_add_f64 v[94:95], v[94:95], v[112:113]
	v_fmac_f64_e32 v[104:105], s[44:45], v[164:165]
	v_add_f64 v[76:77], v[76:77], v[94:95]
	v_fmac_f64_e32 v[100:101], s[52:53], v[188:189]
	;; [unrolled: 2-line block ×6, first 2 shown]
	v_add_f64 v[88:89], v[88:89], v[92:93]
	v_fma_f64 v[96:97], v[146:147], s[22:23], -v[114:115]
	v_fmac_f64_e32 v[82:83], s[48:49], v[6:7]
	v_add_f64 v[84:85], v[84:85], v[88:89]
	v_fma_f64 v[94:95], v[166:167], s[0:1], -v[110:111]
	v_add_f64 v[96:97], v[8:9], v[96:97]
	v_mul_f64 v[110:111], v[156:157], s[26:27]
	v_add_f64 v[82:83], v[82:83], v[84:85]
	v_fma_f64 v[84:85], v[206:207], s[28:29], -v[90:91]
	v_fma_f64 v[90:91], v[182:183], s[14:15], -v[106:107]
	;; [unrolled: 1-line block ×3, first 2 shown]
	v_add_f64 v[94:95], v[94:95], v[96:97]
	v_mul_f64 v[106:107], v[168:169], s[16:17]
	v_fma_f64 v[112:113], s[40:41], v[164:165], v[110:111]
	v_fmac_f64_e32 v[80:81], s[60:61], v[236:237]
	v_fma_f64 v[88:89], v[192:193], s[20:21], -v[102:103]
	v_add_f64 v[92:93], v[92:93], v[94:95]
	v_mul_f64 v[102:103], v[172:173], s[18:19]
	v_fma_f64 v[108:109], s[34:35], v[188:189], v[106:107]
	v_add_f64 v[112:113], v[10:11], v[112:113]
	v_add_f64 v[82:83], v[80:81], v[82:83]
	v_fma_f64 v[80:81], v[216:217], s[18:19], -v[86:87]
	v_fma_f64 v[86:87], v[202:203], s[16:17], -v[98:99]
	v_add_f64 v[90:91], v[90:91], v[92:93]
	v_mul_f64 v[98:99], v[184:185], s[20:21]
	v_fma_f64 v[104:105], s[60:61], v[208:209], v[102:103]
	v_add_f64 v[108:109], v[108:109], v[112:113]
	v_add_f64 v[88:89], v[88:89], v[90:91]
	v_mul_f64 v[94:95], v[194:195], s[0:1]
	v_fma_f64 v[100:101], s[36:37], v[224:225], v[98:99]
	v_add_f64 v[104:105], v[104:105], v[108:109]
	v_add_f64 v[86:87], v[86:87], v[88:89]
	v_mul_f64 v[92:93], v[204:205], s[22:23]
	v_fma_f64 v[96:97], s[52:53], v[226:227], v[94:95]
	v_add_f64 v[100:101], v[100:101], v[104:105]
	v_add_f64 v[84:85], v[84:85], v[86:87]
	v_mul_f64 v[90:91], v[198:199], s[14:15]
	v_fma_f64 v[86:87], s[54:55], v[232:233], v[92:93]
	v_add_f64 v[96:97], v[96:97], v[100:101]
	v_mul_f64 v[238:239], v[116:117], s[46:47]
	v_accvgpr_write_b32 a2, v240
	v_add_f64 v[80:81], v[80:81], v[84:85]
	v_fma_f64 v[84:85], s[38:39], v[6:7], v[90:91]
	v_add_f64 v[86:87], v[86:87], v[96:97]
	v_mul_f64 v[114:115], v[118:119], s[50:51]
	v_accvgpr_write_b32 a3, v241
	v_fma_f64 v[240:241], s[26:27], v[146:147], v[238:239]
	v_fmac_f64_e32 v[110:111], s[46:47], v[164:165]
	v_add_f64 v[84:85], v[84:85], v[86:87]
	v_mul_f64 v[112:113], v[220:221], s[30:31]
	v_fma_f64 v[86:87], s[16:17], v[166:167], v[114:115]
	v_add_f64 v[240:241], v[8:9], v[240:241]
	v_fmac_f64_e32 v[106:107], s[50:51], v[188:189]
	v_add_f64 v[110:111], v[10:11], v[110:111]
	v_mul_f64 v[108:109], v[228:229], s[58:59]
	v_add_f64 v[86:87], v[86:87], v[240:241]
	v_fma_f64 v[240:241], s[18:19], v[170:171], v[112:113]
	v_fmac_f64_e32 v[102:103], s[30:31], v[208:209]
	v_add_f64 v[106:107], v[106:107], v[110:111]
	v_mul_f64 v[104:105], v[230:231], s[24:25]
	v_add_f64 v[86:87], v[240:241], v[86:87]
	v_fma_f64 v[240:241], s[20:21], v[182:183], v[108:109]
	v_fmac_f64_e32 v[98:99], s[58:59], v[224:225]
	v_add_f64 v[102:103], v[102:103], v[106:107]
	v_mul_f64 v[100:101], v[4:5], s[44:45]
	v_add_f64 v[86:87], v[240:241], v[86:87]
	v_fma_f64 v[240:241], s[0:1], v[192:193], v[104:105]
	v_fmac_f64_e32 v[94:95], s[24:25], v[226:227]
	v_add_f64 v[98:99], v[98:99], v[102:103]
	v_mul_f64 v[96:97], v[234:235], s[56:57]
	v_add_f64 v[86:87], v[240:241], v[86:87]
	v_fma_f64 v[240:241], s[22:23], v[202:203], v[100:101]
	v_fmac_f64_e32 v[92:93], s[44:45], v[232:233]
	v_add_f64 v[94:95], v[94:95], v[98:99]
	v_mul_f64 v[88:89], v[218:219], s[28:29]
	v_add_f64 v[86:87], v[240:241], v[86:87]
	v_fma_f64 v[240:241], s[14:15], v[206:207], v[96:97]
	v_fmac_f64_e32 v[90:91], s[56:57], v[6:7]
	v_add_f64 v[92:93], v[92:93], v[94:95]
	v_add_f64 v[240:241], v[240:241], v[86:87]
	v_fma_f64 v[86:87], s[42:43], v[236:237], v[88:89]
	v_accvgpr_write_b32 a4, v242
	v_mul_f64 v[242:243], v[214:215], s[48:49]
	v_add_f64 v[90:91], v[90:91], v[92:93]
	v_fma_f64 v[92:93], v[206:207], s[14:15], -v[96:97]
	v_fma_f64 v[96:97], v[192:193], s[0:1], -v[104:105]
	;; [unrolled: 1-line block ×3, first 2 shown]
	v_add_f64 v[86:87], v[86:87], v[84:85]
	v_fma_f64 v[84:85], s[28:29], v[216:217], v[242:243]
	v_fma_f64 v[102:103], v[166:167], s[16:17], -v[114:115]
	v_add_f64 v[104:105], v[8:9], v[104:105]
	v_mul_f64 v[238:239], v[156:157], s[20:21]
	v_add_f64 v[84:85], v[84:85], v[240:241]
	v_fma_f64 v[94:95], v[202:203], s[22:23], -v[100:101]
	v_fma_f64 v[100:101], v[170:171], s[18:19], -v[112:113]
	v_add_f64 v[102:103], v[102:103], v[104:105]
	v_mul_f64 v[112:113], v[168:169], s[28:29]
	v_fma_f64 v[240:241], s[58:59], v[164:165], v[238:239]
	v_fma_f64 v[98:99], v[182:183], s[20:21], -v[108:109]
	v_add_f64 v[100:101], v[100:101], v[102:103]
	v_mul_f64 v[108:109], v[172:173], s[0:1]
	v_fma_f64 v[114:115], s[48:49], v[188:189], v[112:113]
	v_add_f64 v[240:241], v[10:11], v[240:241]
	v_add_f64 v[98:99], v[98:99], v[100:101]
	v_mul_f64 v[104:105], v[184:185], s[26:27]
	v_fma_f64 v[110:111], s[52:53], v[208:209], v[108:109]
	v_add_f64 v[114:115], v[114:115], v[240:241]
	;; [unrolled: 4-line block ×3, first 2 shown]
	v_fmac_f64_e32 v[88:89], s[48:49], v[236:237]
	v_add_f64 v[94:95], v[94:95], v[96:97]
	v_mul_f64 v[98:99], v[204:205], s[14:15]
	v_fma_f64 v[102:103], s[30:31], v[226:227], v[100:101]
	v_add_f64 v[106:107], v[106:107], v[110:111]
	v_add_f64 v[90:91], v[88:89], v[90:91]
	v_fma_f64 v[88:89], v[216:217], s[28:29], -v[242:243]
	v_add_f64 v[92:93], v[92:93], v[94:95]
	v_mul_f64 v[96:97], v[198:199], s[22:23]
	v_fma_f64 v[94:95], s[56:57], v[232:233], v[98:99]
	v_add_f64 v[102:103], v[102:103], v[106:107]
	v_mul_f64 v[114:115], v[116:117], s[36:37]
	v_add_f64 v[88:89], v[88:89], v[92:93]
	v_fma_f64 v[92:93], s[54:55], v[6:7], v[96:97]
	v_add_f64 v[94:95], v[94:95], v[102:103]
	v_mul_f64 v[110:111], v[118:119], s[42:43]
	v_fma_f64 v[240:241], s[20:21], v[146:147], v[114:115]
	v_fmac_f64_e32 v[238:239], s[36:37], v[164:165]
	v_add_f64 v[92:93], v[92:93], v[94:95]
	v_mul_f64 v[106:107], v[220:221], s[24:25]
	v_fma_f64 v[94:95], s[28:29], v[166:167], v[110:111]
	v_add_f64 v[240:241], v[8:9], v[240:241]
	v_fmac_f64_e32 v[112:113], s[42:43], v[188:189]
	v_add_f64 v[238:239], v[10:11], v[238:239]
	v_mul_f64 v[102:103], v[228:229], s[46:47]
	v_add_f64 v[94:95], v[94:95], v[240:241]
	v_fma_f64 v[240:241], s[0:1], v[170:171], v[106:107]
	v_add_f64 v[112:113], v[112:113], v[238:239]
	v_fmac_f64_e32 v[108:109], s[24:25], v[208:209]
	v_add_f64 v[94:95], v[240:241], v[94:95]
	v_fma_f64 v[240:241], s[26:27], v[182:183], v[102:103]
	v_add_f64 v[108:109], v[108:109], v[112:113]
	v_fma_f64 v[112:113], v[146:147], s[20:21], -v[114:115]
	v_add_f64 v[94:95], v[240:241], v[94:95]
	v_mul_f64 v[240:241], v[230:231], s[60:61]
	v_fma_f64 v[110:111], v[166:167], s[28:29], -v[110:111]
	v_add_f64 v[112:113], v[8:9], v[112:113]
	v_fma_f64 v[242:243], s[18:19], v[192:193], v[240:241]
	v_fma_f64 v[106:107], v[170:171], s[0:1], -v[106:107]
	v_add_f64 v[110:111], v[110:111], v[112:113]
	v_add_f64 v[94:95], v[242:243], v[94:95]
	v_mul_f64 v[242:243], v[4:5], s[38:39]
	v_accvgpr_write_b32 a6, v244
	v_fmac_f64_e32 v[104:105], s[46:47], v[224:225]
	v_fma_f64 v[102:103], v[182:183], s[26:27], -v[102:103]
	v_add_f64 v[106:107], v[106:107], v[110:111]
	v_accvgpr_write_b32 a7, v245
	v_accvgpr_write_b32 a8, v246
	;; [unrolled: 1-line block ×3, first 2 shown]
	v_fma_f64 v[244:245], s[14:15], v[202:203], v[242:243]
	v_add_f64 v[104:105], v[104:105], v[108:109]
	v_fmac_f64_e32 v[100:101], s[60:61], v[226:227]
	v_fma_f64 v[108:109], v[192:193], s[18:19], -v[240:241]
	v_add_f64 v[102:103], v[102:103], v[106:107]
	v_add_f64 v[94:95], v[244:245], v[94:95]
	v_mul_f64 v[244:245], v[234:235], s[44:45]
	v_add_f64 v[100:101], v[100:101], v[104:105]
	v_fmac_f64_e32 v[98:99], s[38:39], v[232:233]
	v_fma_f64 v[104:105], v[202:203], s[14:15], -v[242:243]
	v_add_f64 v[102:103], v[108:109], v[102:103]
	v_mul_f64 v[238:239], v[156:157], s[28:29]
	v_add_f64 v[98:99], v[98:99], v[100:101]
	v_fma_f64 v[100:101], v[206:207], s[22:23], -v[244:245]
	v_add_f64 v[102:103], v[104:105], v[102:103]
	v_mul_f64 v[114:115], v[168:169], s[26:27]
	v_fma_f64 v[240:241], s[42:43], v[164:165], v[238:239]
	v_add_f64 v[100:101], v[100:101], v[102:103]
	v_mul_f64 v[112:113], v[172:173], s[14:15]
	v_fma_f64 v[102:103], s[46:47], v[188:189], v[114:115]
	v_add_f64 v[240:241], v[10:11], v[240:241]
	v_accvgpr_write_b32 a10, v248
	v_mul_f64 v[110:111], v[184:185], s[16:17]
	v_add_f64 v[102:103], v[102:103], v[240:241]
	v_fma_f64 v[240:241], s[38:39], v[208:209], v[112:113]
	v_fma_f64 v[246:247], s[22:23], v[206:207], v[244:245]
	v_accvgpr_write_b32 a11, v249
	v_accvgpr_write_b32 a12, v250
	;; [unrolled: 1-line block ×3, first 2 shown]
	v_mul_f64 v[248:249], v[218:219], s[16:17]
	v_fmac_f64_e32 v[96:97], s[44:45], v[6:7]
	v_mul_f64 v[108:109], v[194:195], s[22:23]
	v_add_f64 v[102:103], v[240:241], v[102:103]
	v_fma_f64 v[240:241], s[50:51], v[224:225], v[110:111]
	v_add_f64 v[246:247], v[246:247], v[94:95]
	v_fma_f64 v[94:95], s[34:35], v[236:237], v[248:249]
	v_mul_f64 v[250:251], v[214:215], s[50:51]
	v_fmac_f64_e32 v[248:249], s[50:51], v[236:237]
	v_add_f64 v[96:97], v[96:97], v[98:99]
	v_mul_f64 v[106:107], v[204:205], s[18:19]
	v_add_f64 v[102:103], v[240:241], v[102:103]
	v_fma_f64 v[240:241], s[54:55], v[226:227], v[108:109]
	v_add_f64 v[98:99], v[248:249], v[96:97]
	v_fma_f64 v[96:97], v[216:217], s[16:17], -v[250:251]
	v_mul_f64 v[104:105], v[198:199], s[0:1]
	v_add_f64 v[102:103], v[240:241], v[102:103]
	v_fma_f64 v[240:241], s[30:31], v[232:233], v[106:107]
	v_add_f64 v[96:97], v[96:97], v[100:101]
	v_fma_f64 v[100:101], s[52:53], v[6:7], v[104:105]
	v_add_f64 v[102:103], v[240:241], v[102:103]
	v_mul_f64 v[240:241], v[116:117], s[48:49]
	v_add_f64 v[100:101], v[100:101], v[102:103]
	v_fma_f64 v[102:103], s[28:29], v[146:147], v[240:241]
	v_mul_f64 v[242:243], v[118:119], s[40:41]
	v_add_f64 v[102:103], v[8:9], v[102:103]
	v_fma_f64 v[244:245], s[26:27], v[166:167], v[242:243]
	v_add_f64 v[94:95], v[94:95], v[92:93]
	v_fma_f64 v[92:93], s[16:17], v[216:217], v[250:251]
	v_add_f64 v[102:103], v[244:245], v[102:103]
	v_mul_f64 v[244:245], v[220:221], s[56:57]
	v_fmac_f64_e32 v[238:239], s[48:49], v[164:165]
	v_add_f64 v[92:93], v[92:93], v[246:247]
	v_fma_f64 v[246:247], s[14:15], v[170:171], v[244:245]
	v_fmac_f64_e32 v[114:115], s[40:41], v[188:189]
	v_add_f64 v[238:239], v[10:11], v[238:239]
	v_add_f64 v[102:103], v[246:247], v[102:103]
	v_mul_f64 v[246:247], v[228:229], s[34:35]
	v_add_f64 v[114:115], v[114:115], v[238:239]
	v_fmac_f64_e32 v[112:113], s[56:57], v[208:209]
	v_fma_f64 v[248:249], s[16:17], v[182:183], v[246:247]
	v_add_f64 v[112:113], v[112:113], v[114:115]
	v_fmac_f64_e32 v[110:111], s[34:35], v[224:225]
	v_add_f64 v[102:103], v[248:249], v[102:103]
	v_mul_f64 v[248:249], v[230:231], s[44:45]
	v_add_f64 v[110:111], v[110:111], v[112:113]
	v_fmac_f64_e32 v[108:109], s[44:45], v[226:227]
	v_fma_f64 v[250:251], s[22:23], v[192:193], v[248:249]
	v_add_f64 v[108:109], v[108:109], v[110:111]
	v_fmac_f64_e32 v[106:107], s[60:61], v[232:233]
	v_add_f64 v[102:103], v[250:251], v[102:103]
	v_mul_f64 v[250:251], v[4:5], s[60:61]
	v_add_f64 v[106:107], v[106:107], v[108:109]
	v_fmac_f64_e32 v[104:105], s[24:25], v[6:7]
	v_fma_f64 v[108:109], v[146:147], s[28:29], -v[240:241]
	v_fma_f64 v[252:253], s[18:19], v[202:203], v[250:251]
	v_add_f64 v[104:105], v[104:105], v[106:107]
	v_fma_f64 v[106:107], v[166:167], s[26:27], -v[242:243]
	v_add_f64 v[108:109], v[8:9], v[108:109]
	v_add_f64 v[102:103], v[252:253], v[102:103]
	v_mul_f64 v[252:253], v[234:235], s[24:25]
	v_accvgpr_write_b32 a23, v1
	v_add_f64 v[106:107], v[106:107], v[108:109]
	v_fma_f64 v[108:109], v[170:171], s[14:15], -v[244:245]
	v_fma_f64 v[254:255], s[0:1], v[206:207], v[252:253]
	v_accvgpr_write_b32 a22, v0
	v_mul_f64 v[0:1], v[218:219], s[20:21]
	v_add_f64 v[108:109], v[108:109], v[106:107]
	v_fma_f64 v[112:113], v[182:183], s[16:17], -v[246:247]
	v_add_f64 v[254:255], v[254:255], v[102:103]
	v_fma_f64 v[102:103], s[58:59], v[236:237], v[0:1]
	v_accvgpr_write_b32 a25, v3
	v_fmac_f64_e32 v[0:1], s[36:37], v[236:237]
	v_fma_f64 v[110:111], v[192:193], s[22:23], -v[248:249]
	v_add_f64 v[108:109], v[112:113], v[108:109]
	v_accvgpr_write_b32 a24, v2
	v_mul_f64 v[2:3], v[214:215], s[36:37]
	v_add_f64 v[106:107], v[0:1], v[104:105]
	v_fma_f64 v[104:105], v[202:203], s[18:19], -v[250:251]
	v_add_f64 v[108:109], v[110:111], v[108:109]
	v_add_f64 v[102:103], v[102:103], v[100:101]
	v_fma_f64 v[100:101], s[20:21], v[216:217], v[2:3]
	v_fma_f64 v[0:1], v[216:217], s[20:21], -v[2:3]
	v_fma_f64 v[2:3], v[206:207], s[0:1], -v[252:253]
	v_add_f64 v[104:105], v[104:105], v[108:109]
	v_mul_f64 v[114:115], v[156:157], s[18:19]
	v_add_f64 v[2:3], v[2:3], v[104:105]
	v_mul_f64 v[112:113], v[168:169], s[22:23]
	v_fma_f64 v[110:111], s[60:61], v[164:165], v[114:115]
	v_add_f64 v[104:105], v[0:1], v[2:3]
	v_mul_f64 v[2:3], v[172:173], s[28:29]
	v_fma_f64 v[108:109], s[54:55], v[188:189], v[112:113]
	v_add_f64 v[110:111], v[10:11], v[110:111]
	v_mul_f64 v[0:1], v[184:185], s[0:1]
	v_add_f64 v[108:109], v[108:109], v[110:111]
	v_fma_f64 v[110:111], s[48:49], v[208:209], v[2:3]
	v_add_f64 v[108:109], v[110:111], v[108:109]
	v_fma_f64 v[110:111], s[24:25], v[224:225], v[0:1]
	v_mul_f64 v[238:239], v[194:195], s[16:17]
	v_add_f64 v[108:109], v[110:111], v[108:109]
	v_fma_f64 v[110:111], s[50:51], v[226:227], v[238:239]
	v_mul_f64 v[240:241], v[204:205], s[26:27]
	;; [unrolled: 3-line block ×5, first 2 shown]
	v_add_f64 v[110:111], v[8:9], v[110:111]
	v_fma_f64 v[248:249], s[22:23], v[166:167], v[246:247]
	v_add_f64 v[110:111], v[248:249], v[110:111]
	v_mul_f64 v[248:249], v[220:221], s[42:43]
	v_fma_f64 v[250:251], s[28:29], v[170:171], v[248:249]
	v_add_f64 v[110:111], v[250:251], v[110:111]
	v_mul_f64 v[250:251], v[228:229], s[52:53]
	;; [unrolled: 3-line block ×3, first 2 shown]
	v_add_f64 v[100:101], v[100:101], v[254:255]
	v_fma_f64 v[254:255], s[16:17], v[192:193], v[252:253]
	v_accvgpr_write_b32 a14, v76
	v_add_f64 v[110:111], v[254:255], v[110:111]
	v_mul_f64 v[254:255], v[4:5], s[46:47]
	v_accvgpr_write_b32 a15, v77
	v_accvgpr_write_b32 a16, v78
	;; [unrolled: 1-line block ×3, first 2 shown]
	v_fma_f64 v[76:77], s[26:27], v[202:203], v[254:255]
	v_mul_f64 v[78:79], v[234:235], s[58:59]
	v_add_f64 v[76:77], v[76:77], v[110:111]
	v_fma_f64 v[110:111], s[20:21], v[206:207], v[78:79]
	v_mul_f64 v[120:121], v[218:219], s[14:15]
	v_add_f64 v[76:77], v[110:111], v[76:77]
	;; [unrolled: 3-line block ×3, first 2 shown]
	v_fma_f64 v[108:109], s[14:15], v[216:217], v[122:123]
	v_fmac_f64_e32 v[114:115], s[30:31], v[164:165]
	v_add_f64 v[108:109], v[108:109], v[76:77]
	v_fmac_f64_e32 v[112:113], s[44:45], v[188:189]
	v_add_f64 v[76:77], v[10:11], v[114:115]
	v_add_f64 v[76:77], v[112:113], v[76:77]
	v_fmac_f64_e32 v[2:3], s[42:43], v[208:209]
	v_add_f64 v[2:3], v[2:3], v[76:77]
	v_fmac_f64_e32 v[0:1], s[52:53], v[224:225]
	v_fma_f64 v[76:77], v[146:147], s[18:19], -v[244:245]
	v_add_f64 v[0:1], v[0:1], v[2:3]
	v_fma_f64 v[2:3], v[166:167], s[22:23], -v[246:247]
	v_add_f64 v[76:77], v[8:9], v[76:77]
	v_add_f64 v[2:3], v[2:3], v[76:77]
	v_fma_f64 v[76:77], v[170:171], s[28:29], -v[248:249]
	v_fmac_f64_e32 v[238:239], s[34:35], v[226:227]
	v_add_f64 v[2:3], v[76:77], v[2:3]
	v_fma_f64 v[76:77], v[182:183], s[0:1], -v[250:251]
	v_add_f64 v[0:1], v[238:239], v[0:1]
	v_fmac_f64_e32 v[240:241], s[46:47], v[232:233]
	v_add_f64 v[2:3], v[76:77], v[2:3]
	v_fma_f64 v[76:77], v[192:193], s[16:17], -v[252:253]
	v_add_f64 v[0:1], v[240:241], v[0:1]
	;; [unrolled: 4-line block ×3, first 2 shown]
	v_add_f64 v[2:3], v[76:77], v[2:3]
	v_fma_f64 v[76:77], v[206:207], s[20:21], -v[78:79]
	v_fmac_f64_e32 v[120:121], s[56:57], v[236:237]
	v_add_f64 v[2:3], v[76:77], v[2:3]
	v_add_f64 v[114:115], v[120:121], v[0:1]
	v_fma_f64 v[0:1], v[216:217], s[14:15], -v[122:123]
	v_add_f64 v[112:113], v[0:1], v[2:3]
	v_mul_f64 v[0:1], v[156:157], s[16:17]
	v_fma_f64 v[2:3], s[50:51], v[164:165], v[0:1]
	v_mul_f64 v[76:77], v[168:169], s[20:21]
	v_add_f64 v[2:3], v[10:11], v[2:3]
	v_fma_f64 v[78:79], s[58:59], v[188:189], v[76:77]
	v_add_f64 v[2:3], v[78:79], v[2:3]
	v_mul_f64 v[78:79], v[172:173], s[22:23]
	v_fma_f64 v[120:121], s[44:45], v[208:209], v[78:79]
	v_add_f64 v[2:3], v[120:121], v[2:3]
	v_mul_f64 v[120:121], v[184:185], s[28:29]
	v_fma_f64 v[122:123], s[48:49], v[224:225], v[120:121]
	v_add_f64 v[2:3], v[122:123], v[2:3]
	v_mul_f64 v[122:123], v[194:195], s[14:15]
	v_fma_f64 v[238:239], s[38:39], v[226:227], v[122:123]
	v_add_f64 v[2:3], v[238:239], v[2:3]
	v_mul_f64 v[238:239], v[204:205], s[0:1]
	v_fma_f64 v[240:241], s[52:53], v[232:233], v[238:239]
	v_add_f64 v[2:3], v[240:241], v[2:3]
	v_mul_f64 v[240:241], v[198:199], s[18:19]
	v_fma_f64 v[242:243], s[60:61], v[6:7], v[240:241]
	v_mul_f64 v[244:245], v[116:117], s[34:35]
	v_add_f64 v[2:3], v[242:243], v[2:3]
	v_mul_f64 v[242:243], v[118:119], s[36:37]
	v_fma_f64 v[116:117], s[16:17], v[146:147], v[244:245]
	v_add_f64 v[116:117], v[8:9], v[116:117]
	v_fma_f64 v[118:119], s[20:21], v[166:167], v[242:243]
	v_mul_f64 v[220:221], v[220:221], s[54:55]
	v_add_f64 v[116:117], v[118:119], v[116:117]
	v_fma_f64 v[118:119], s[22:23], v[170:171], v[220:221]
	v_mul_f64 v[228:229], v[228:229], s[42:43]
	;; [unrolled: 3-line block ×4, first 2 shown]
	v_fmac_f64_e32 v[0:1], s[34:35], v[164:165]
	v_add_f64 v[116:117], v[118:119], v[116:117]
	v_fma_f64 v[118:119], s[0:1], v[202:203], v[4:5]
	v_mul_f64 v[234:235], v[234:235], s[30:31]
	v_fmac_f64_e32 v[76:77], s[36:37], v[188:189]
	v_add_f64 v[0:1], v[10:11], v[0:1]
	v_add_f64 v[116:117], v[118:119], v[116:117]
	v_fma_f64 v[118:119], s[18:19], v[206:207], v[234:235]
	v_mul_f64 v[246:247], v[218:219], s[26:27]
	v_fmac_f64_e32 v[78:79], s[54:55], v[208:209]
	v_add_f64 v[0:1], v[76:77], v[0:1]
	v_add_f64 v[116:117], v[118:119], v[116:117]
	v_fma_f64 v[118:119], s[40:41], v[236:237], v[246:247]
	v_fmac_f64_e32 v[120:121], s[42:43], v[224:225]
	v_add_f64 v[0:1], v[78:79], v[0:1]
	v_add_f64 v[118:119], v[118:119], v[2:3]
	v_mul_f64 v[2:3], v[214:215], s[46:47]
	v_mul_f64 v[76:77], v[146:147], s[0:1]
	v_add_f64 v[0:1], v[120:121], v[0:1]
	v_mul_f64 v[120:121], v[146:147], s[14:15]
	v_fma_f64 v[146:147], v[146:147], s[16:17], -v[244:245]
	v_fma_f64 v[214:215], s[26:27], v[216:217], v[2:3]
	v_fmac_f64_e32 v[240:241], s[30:31], v[6:7]
	v_fmac_f64_e32 v[122:123], s[56:57], v[226:227]
	v_mul_f64 v[78:79], v[156:157], s[0:1]
	v_mul_f64 v[156:157], v[156:157], s[14:15]
	;; [unrolled: 1-line block ×3, first 2 shown]
	v_fma_f64 v[6:7], v[166:167], s[20:21], -v[242:243]
	v_add_f64 v[146:147], v[8:9], v[146:147]
	v_add_f64 v[120:121], v[120:121], -v[124:125]
	v_add_f64 v[116:117], v[214:215], v[116:117]
	v_add_f64 v[0:1], v[122:123], v[0:1]
	v_mul_f64 v[122:123], v[166:167], s[14:15]
	v_mul_f64 v[164:165], v[168:169], s[14:15]
	;; [unrolled: 1-line block ×4, first 2 shown]
	v_fma_f64 v[214:215], v[170:171], s[22:23], -v[220:221]
	v_mul_f64 v[170:171], v[170:171], s[20:21]
	v_add_f64 v[6:7], v[6:7], v[146:147]
	v_add_f64 v[128:129], v[128:129], v[156:157]
	v_add_f64 v[130:131], v[188:189], -v[130:131]
	v_add_f64 v[120:121], v[8:9], v[120:121]
	v_mul_f64 v[208:209], v[172:173], s[16:17]
	v_mul_f64 v[172:173], v[172:173], s[20:21]
	;; [unrolled: 1-line block ×3, first 2 shown]
	v_add_f64 v[6:7], v[214:215], v[6:7]
	v_fma_f64 v[146:147], v[182:183], s[28:29], -v[228:229]
	v_mul_f64 v[182:183], v[182:183], s[22:23]
	v_add_f64 v[136:137], v[136:137], v[168:169]
	v_add_f64 v[128:129], v[10:11], v[128:129]
	v_add_f64 v[140:141], v[170:171], -v[140:141]
	v_add_f64 v[120:121], v[130:131], v[120:121]
	v_add_f64 v[6:7], v[146:147], v[6:7]
	v_mul_f64 v[224:225], v[192:193], s[28:29]
	v_fma_f64 v[146:147], v[192:193], s[14:15], -v[230:231]
	v_mul_f64 v[192:193], v[192:193], s[26:27]
	v_add_f64 v[144:145], v[144:145], v[172:173]
	v_add_f64 v[128:129], v[136:137], v[128:129]
	v_add_f64 v[148:149], v[182:183], -v[148:149]
	v_add_f64 v[120:121], v[140:141], v[120:121]
	v_mul_f64 v[214:215], v[184:185], s[18:19]
	v_add_f64 v[6:7], v[146:147], v[6:7]
	v_mul_f64 v[226:227], v[194:195], s[28:29]
	v_mul_f64 v[146:147], v[194:195], s[26:27]
	v_fma_f64 v[4:5], v[202:203], s[0:1], -v[4:5]
	v_mul_f64 v[194:195], v[202:203], s[20:21]
	v_mul_f64 v[202:203], v[202:203], s[28:29]
	v_add_f64 v[128:129], v[144:145], v[128:129]
	v_add_f64 v[144:145], v[192:193], -v[162:163]
	v_add_f64 v[120:121], v[148:149], v[120:121]
	v_add_f64 v[136:137], v[202:203], -v[178:179]
	v_add_f64 v[120:121], v[144:145], v[120:121]
	v_add_f64 v[130:131], v[138:139], v[214:215]
	v_accvgpr_read_b32 v139, a25
	v_add_f64 v[120:121], v[136:137], v[120:121]
	v_accvgpr_read_b32 v137, a21
	v_accvgpr_read_b32 v138, a24
	;; [unrolled: 1-line block ×3, first 2 shown]
	v_add_f64 v[78:79], v[138:139], v[78:79]
	v_add_f64 v[136:137], v[136:137], v[164:165]
	;; [unrolled: 1-line block ×7, first 2 shown]
	v_accvgpr_read_b32 v131, a19
	v_accvgpr_read_b32 v130, a18
	v_add_f64 v[122:123], v[122:123], -v[130:131]
	v_accvgpr_read_b32 v131, a23
	v_accvgpr_read_b32 v130, a22
	v_add_f64 v[76:77], v[76:77], -v[130:131]
	v_add_f64 v[76:77], v[8:9], v[76:77]
	v_add_f64 v[10:11], v[10:11], v[14:15]
	v_add_f64 v[8:9], v[8:9], v[12:13]
	v_add_f64 v[10:11], v[10:11], v[18:19]
	v_add_f64 v[8:9], v[8:9], v[16:17]
	v_fmac_f64_e32 v[238:239], s[24:25], v[232:233]
	v_add_f64 v[10:11], v[10:11], v[22:23]
	v_add_f64 v[8:9], v[8:9], v[20:21]
	;; [unrolled: 1-line block ×3, first 2 shown]
	v_mul_f64 v[184:185], v[184:185], s[22:23]
	v_add_f64 v[10:11], v[10:11], v[26:27]
	v_add_f64 v[8:9], v[8:9], v[24:25]
	v_fmac_f64_e32 v[246:247], s[46:47], v[236:237]
	v_add_f64 v[0:1], v[240:241], v[0:1]
	v_add_f64 v[4:5], v[4:5], v[6:7]
	v_fma_f64 v[6:7], v[206:207], s[18:19], -v[234:235]
	v_add_f64 v[154:155], v[154:155], v[184:185]
	v_add_f64 v[10:11], v[10:11], v[30:31]
	;; [unrolled: 1-line block ×4, first 2 shown]
	v_mul_f64 v[228:229], v[204:205], s[20:21]
	v_mul_f64 v[204:205], v[204:205], s[28:29]
	v_add_f64 v[6:7], v[246:247], v[0:1]
	v_fma_f64 v[0:1], v[216:217], s[26:27], -v[2:3]
	v_mul_f64 v[2:3], v[218:219], s[0:1]
	v_add_f64 v[146:147], v[180:181], v[146:147]
	v_add_f64 v[128:129], v[154:155], v[128:129]
	;; [unrolled: 1-line block ×5, first 2 shown]
	v_mul_f64 v[222:223], v[198:199], s[26:27]
	v_mul_f64 v[198:199], v[198:199], s[16:17]
	v_add_f64 v[196:197], v[196:197], v[204:205]
	v_add_f64 v[128:129], v[146:147], v[128:129]
	;; [unrolled: 1-line block ×9, first 2 shown]
	v_mul_f64 v[0:1], v[206:207], s[26:27]
	v_mul_f64 v[206:207], v[206:207], s[16:17]
	v_add_f64 v[128:129], v[198:199], v[128:129]
	v_add_f64 v[10:11], v[10:11], v[46:47]
	;; [unrolled: 1-line block ×4, first 2 shown]
	v_add_f64 v[128:129], v[206:207], -v[190:191]
	v_add_f64 v[10:11], v[10:11], v[50:51]
	v_add_f64 v[8:9], v[8:9], v[48:49]
	v_mul_f64 v[210:211], v[216:217], s[22:23]
	v_mul_f64 v[216:217], v[216:217], s[0:1]
	v_add_f64 v[120:121], v[128:129], v[120:121]
	v_add_f64 v[128:129], v[150:151], v[226:227]
	v_add_f64 v[126:127], v[166:167], -v[126:127]
	v_add_f64 v[76:77], v[122:123], v[76:77]
	v_add_f64 v[10:11], v[10:11], v[54:55]
	;; [unrolled: 1-line block ×3, first 2 shown]
	v_add_f64 v[2:3], v[216:217], -v[200:201]
	v_add_f64 v[124:125], v[158:159], v[228:229]
	v_add_f64 v[78:79], v[128:129], v[78:79]
	v_add_f64 v[128:129], v[220:221], -v[134:135]
	v_add_f64 v[76:77], v[126:127], v[76:77]
	v_add_f64 v[10:11], v[10:11], v[58:59]
	;; [unrolled: 1-line block ×3, first 2 shown]
	v_accvgpr_read_b32 v241, a3
	v_add_f64 v[144:145], v[2:3], v[120:121]
	v_add_f64 v[120:121], v[174:175], v[222:223]
	;; [unrolled: 1-line block ×3, first 2 shown]
	v_add_f64 v[124:125], v[224:225], -v[142:143]
	v_add_f64 v[76:77], v[128:129], v[76:77]
	v_add_f64 v[10:11], v[10:11], v[62:63]
	;; [unrolled: 1-line block ×3, first 2 shown]
	v_accvgpr_read_b32 v240, a2
	v_mul_f64 v[218:219], v[218:219], s[22:23]
	v_add_f64 v[78:79], v[120:121], v[78:79]
	v_add_f64 v[120:121], v[194:195], -v[152:153]
	v_add_f64 v[76:77], v[124:125], v[76:77]
	v_add_f64 v[10:11], v[10:11], v[66:67]
	;; [unrolled: 1-line block ×3, first 2 shown]
	v_accvgpr_read_b32 v251, a13
	v_accvgpr_read_b32 v247, a9
	v_add_f64 v[2:3], v[186:187], v[218:219]
	v_add_f64 v[0:1], v[0:1], -v[160:161]
	v_add_f64 v[76:77], v[120:121], v[76:77]
	v_add_f64 v[10:11], v[10:11], v[70:71]
	;; [unrolled: 1-line block ×3, first 2 shown]
	v_mul_lo_u16_e32 v12, 17, v240
	v_accvgpr_read_b32 v250, a12
	v_accvgpr_read_b32 v249, a11
	;; [unrolled: 1-line block ×8, first 2 shown]
	v_add_f64 v[2:3], v[2:3], v[78:79]
	v_add_f64 v[78:79], v[210:211], -v[176:177]
	v_add_f64 v[0:1], v[0:1], v[76:77]
	v_add_f64 v[10:11], v[10:11], v[74:75]
	;; [unrolled: 1-line block ×3, first 2 shown]
	v_add_lshl_u32 v12, v212, v12, 4
	v_add_f64 v[0:1], v[78:79], v[0:1]
	ds_write_b128 v12, v[8:11]
	ds_write_b128 v12, v[0:3] offset:16
	ds_write_b128 v12, v[144:147] offset:32
	;; [unrolled: 1-line block ×16, first 2 shown]
.LBB0_7:
	s_or_b64 exec, exec, s[6:7]
	s_mov_b64 s[0:1], 0x55
	v_lshl_add_u64 v[2:3], v[240:241], 0, s[0:1]
	s_mov_b64 s[0:1], 0xaa
	v_lshl_add_u64 v[0:1], v[240:241], 0, s[0:1]
	s_movk_i32 s14, 0xf1
	v_mul_lo_u16_sdwa v1, v240, s14 dst_sel:DWORD dst_unused:UNUSED_PAD src0_sel:BYTE_0 src1_sel:DWORD
	v_lshrrev_b16_e32 v1, 12, v1
	v_mul_lo_u16_e32 v3, 17, v1
	v_sub_u16_e32 v3, v240, v3
	v_mov_b32_e32 v4, 5
	v_lshlrev_b32_sdwa v5, v4, v3 dst_sel:DWORD dst_unused:UNUSED_PAD src0_sel:DWORD src1_sel:BYTE_0
	s_load_dwordx4 s[4:7], s[4:5], 0x0
	s_waitcnt lgkmcnt(0)
	s_barrier
	global_load_dwordx4 v[214:217], v5, s[10:11] offset:16
	global_load_dwordx4 v[218:221], v5, s[10:11]
	v_mul_lo_u16_sdwa v5, v2, s14 dst_sel:DWORD dst_unused:UNUSED_PAD src0_sel:BYTE_0 src1_sel:DWORD
	v_lshrrev_b16_e32 v45, 12, v5
	v_mul_lo_u16_e32 v5, 17, v45
	v_sub_u16_e32 v100, v2, v5
	v_lshlrev_b32_sdwa v5, v4, v100 dst_sel:DWORD dst_unused:UNUSED_PAD src0_sel:DWORD src1_sel:BYTE_0
	global_load_dwordx4 v[222:225], v5, s[10:11] offset:16
	global_load_dwordx4 v[226:229], v5, s[10:11]
	v_mul_lo_u16_sdwa v5, v0, s14 dst_sel:DWORD dst_unused:UNUSED_PAD src0_sel:BYTE_0 src1_sel:DWORD
	v_lshrrev_b16_e32 v101, 12, v5
	v_mul_lo_u16_e32 v5, 17, v101
	v_sub_u16_e32 v102, v0, v5
	s_mov_b64 s[0:1], 0xff
	v_lshlrev_b32_sdwa v4, v4, v102 dst_sel:DWORD dst_unused:UNUSED_PAD src0_sel:DWORD src1_sel:BYTE_0
	global_load_dwordx4 v[230:233], v4, s[10:11] offset:16
	global_load_dwordx4 v[234:237], v4, s[10:11]
	v_lshl_add_u64 v[4:5], v[240:241], 0, s[0:1]
	s_mov_b32 s14, 0xf0f1
	v_mul_u32_u24_sdwa v5, v4, s14 dst_sel:DWORD dst_unused:UNUSED_PAD src0_sel:WORD_0 src1_sel:DWORD
	v_lshrrev_b32_e32 v103, 20, v5
	v_mul_lo_u16_e32 v5, 17, v103
	v_sub_u16_e32 v104, v4, v5
	v_lshlrev_b16_e32 v4, 1, v104
	s_mov_b64 s[0:1], 0x154
	v_lshlrev_b32_e32 v4, 4, v4
	global_load_dwordx4 v[252:255], v4, s[10:11] offset:16
	global_load_dwordx4 v[90:93], v4, s[10:11]
	v_lshl_add_u64 v[4:5], v[240:241], 0, s[0:1]
	v_mul_u32_u24_sdwa v5, v4, s14 dst_sel:DWORD dst_unused:UNUSED_PAD src0_sel:WORD_0 src1_sel:DWORD
	v_lshrrev_b32_e32 v105, 20, v5
	v_mul_lo_u16_e32 v5, 17, v105
	v_sub_u16_e32 v106, v4, v5
	v_lshlrev_b16_e32 v4, 1, v106
	v_lshlrev_b32_e32 v4, 4, v4
	global_load_dwordx4 v[96:99], v4, s[10:11]
	global_load_dwordx4 v[108:111], v4, s[10:11] offset:16
	v_add_lshl_u32 v44, v212, v240, 4
	ds_read_b128 v[4:7], v44
	ds_read_b128 v[60:63], v44 offset:1360
	ds_read_b128 v[8:11], v44 offset:13600
	;; [unrolled: 1-line block ×14, first 2 shown]
	s_mov_b32 s0, 0xe8584caa
	s_mov_b32 s1, 0x3febb67a
	;; [unrolled: 1-line block ×4, first 2 shown]
	v_mul_u32_u24_e32 v1, 51, v1
	v_add_u32_sdwa v1, v1, v3 dst_sel:DWORD dst_unused:UNUSED_PAD src0_sel:DWORD src1_sel:BYTE_0
	s_waitcnt lgkmcnt(0)
	s_barrier
	v_cmp_gt_u16_e32 vcc, 51, v240
	s_mov_b32 s19, 0xbfee6f0e
	s_mov_b32 s16, 0x372fe950
	;; [unrolled: 1-line block ×4, first 2 shown]
	v_lshl_add_u32 v243, v240, 4, v213
	s_waitcnt vmcnt(9)
	v_mul_f64 v[70:71], v[10:11], v[216:217]
	s_waitcnt vmcnt(8)
	v_mul_f64 v[68:69], v[32:33], v[220:221]
	v_mul_f64 v[46:47], v[34:35], v[220:221]
	;; [unrolled: 1-line block ×3, first 2 shown]
	v_fmac_f64_e32 v[68:69], v[34:35], v[218:219]
	v_fma_f64 v[34:35], v[8:9], v[214:215], -v[70:71]
	v_fma_f64 v[32:33], v[32:33], v[218:219], -v[46:47]
	s_waitcnt vmcnt(6)
	v_mul_f64 v[8:9], v[18:19], v[228:229]
	v_fma_f64 v[76:77], v[16:17], v[226:227], -v[8:9]
	v_fmac_f64_e32 v[72:73], v[10:11], v[214:215]
	v_mul_f64 v[10:11], v[14:15], v[224:225]
	v_mul_f64 v[70:71], v[12:13], v[224:225]
	v_fma_f64 v[78:79], v[12:13], v[222:223], -v[10:11]
	s_waitcnt vmcnt(5)
	v_mul_f64 v[8:9], v[26:27], v[232:233]
	v_fma_f64 v[82:83], v[24:25], v[230:231], -v[8:9]
	v_add_f64 v[10:11], v[32:33], v[34:35]
	v_mul_f64 v[46:47], v[16:17], v[228:229]
	v_fmac_f64_e32 v[70:71], v[14:15], v[222:223]
	v_add_f64 v[14:15], v[68:69], v[72:73]
	s_waitcnt vmcnt(4)
	v_mul_f64 v[74:75], v[22:23], v[236:237]
	v_fmac_f64_e32 v[46:47], v[18:19], v[226:227]
	v_mul_f64 v[80:81], v[20:21], v[236:237]
	v_add_f64 v[16:17], v[32:33], -v[34:35]
	v_add_f64 v[18:19], v[76:77], v[78:79]
	s_waitcnt vmcnt(2)
	v_mul_f64 v[8:9], v[38:39], v[92:93]
	v_fma_f64 v[86:87], v[36:37], v[90:91], -v[8:9]
	v_mul_f64 v[88:89], v[36:37], v[92:93]
	v_mul_f64 v[8:9], v[30:31], v[254:255]
	v_accvgpr_write_b32 a32, v90
	v_fmac_f64_e32 v[88:89], v[38:39], v[90:91]
	v_fma_f64 v[38:39], v[28:29], v[252:253], -v[8:9]
	s_waitcnt vmcnt(1)
	v_mul_f64 v[8:9], v[42:43], v[98:99]
	v_accvgpr_write_b32 a33, v91
	v_accvgpr_write_b32 a34, v92
	;; [unrolled: 1-line block ×3, first 2 shown]
	v_fma_f64 v[92:93], v[40:41], v[96:97], -v[8:9]
	v_mul_f64 v[94:95], v[40:41], v[98:99]
	v_accvgpr_write_b32 a40, v96
	s_waitcnt vmcnt(0)
	v_mul_f64 v[8:9], v[66:67], v[110:111]
	v_accvgpr_write_b32 a41, v97
	v_accvgpr_write_b32 a42, v98
	;; [unrolled: 1-line block ×3, first 2 shown]
	v_fmac_f64_e32 v[94:95], v[42:43], v[96:97]
	v_fma_f64 v[96:97], v[64:65], v[108:109], -v[8:9]
	v_add_f64 v[8:9], v[4:5], v[32:33]
	v_fmac_f64_e32 v[4:5], -0.5, v[10:11]
	v_add_f64 v[10:11], v[68:69], -v[72:73]
	v_fma_f64 v[12:13], s[0:1], v[10:11], v[4:5]
	v_fmac_f64_e32 v[4:5], s[14:15], v[10:11]
	v_add_f64 v[10:11], v[6:7], v[68:69]
	v_fmac_f64_e32 v[6:7], -0.5, v[14:15]
	v_fma_f64 v[74:75], v[20:21], v[234:235], -v[74:75]
	v_fmac_f64_e32 v[80:81], v[22:23], v[234:235]
	v_mul_f64 v[84:85], v[24:25], v[232:233]
	v_fma_f64 v[14:15], s[14:15], v[16:17], v[6:7]
	v_fmac_f64_e32 v[6:7], s[0:1], v[16:17]
	v_add_f64 v[16:17], v[60:61], v[76:77]
	v_fmac_f64_e32 v[60:61], -0.5, v[18:19]
	v_add_f64 v[18:19], v[46:47], -v[70:71]
	v_add_f64 v[22:23], v[46:47], v[70:71]
	v_fmac_f64_e32 v[84:85], v[26:27], v[230:231]
	v_mul_f64 v[90:91], v[28:29], v[254:255]
	v_fma_f64 v[20:21], s[0:1], v[18:19], v[60:61]
	v_fmac_f64_e32 v[60:61], s[14:15], v[18:19]
	v_add_f64 v[18:19], v[62:63], v[46:47]
	v_fmac_f64_e32 v[62:63], -0.5, v[22:23]
	v_add_f64 v[24:25], v[76:77], -v[78:79]
	v_add_f64 v[26:27], v[74:75], v[82:83]
	v_fmac_f64_e32 v[90:91], v[30:31], v[252:253]
	v_fma_f64 v[22:23], s[14:15], v[24:25], v[62:63]
	v_fmac_f64_e32 v[62:63], s[0:1], v[24:25]
	v_add_f64 v[24:25], v[56:57], v[74:75]
	v_fmac_f64_e32 v[56:57], -0.5, v[26:27]
	v_add_f64 v[26:27], v[80:81], -v[84:85]
	v_add_f64 v[30:31], v[80:81], v[84:85]
	v_add_f64 v[8:9], v[8:9], v[34:35]
	v_fma_f64 v[28:29], s[0:1], v[26:27], v[56:57]
	v_fmac_f64_e32 v[56:57], s[14:15], v[26:27]
	v_add_f64 v[26:27], v[58:59], v[80:81]
	v_fmac_f64_e32 v[58:59], -0.5, v[30:31]
	v_add_f64 v[32:33], v[74:75], -v[82:83]
	v_add_f64 v[34:35], v[86:87], v[38:39]
	v_mul_f64 v[98:99], v[64:65], v[110:111]
	v_fma_f64 v[30:31], s[14:15], v[32:33], v[58:59]
	v_fmac_f64_e32 v[58:59], s[0:1], v[32:33]
	v_add_f64 v[32:33], v[52:53], v[86:87]
	v_fmac_f64_e32 v[52:53], -0.5, v[34:35]
	v_add_f64 v[34:35], v[88:89], -v[90:91]
	v_add_f64 v[40:41], v[88:89], v[90:91]
	v_fmac_f64_e32 v[98:99], v[66:67], v[108:109]
	v_add_f64 v[24:25], v[24:25], v[82:83]
	v_fma_f64 v[36:37], s[0:1], v[34:35], v[52:53]
	v_fmac_f64_e32 v[52:53], s[14:15], v[34:35]
	v_add_f64 v[34:35], v[54:55], v[88:89]
	v_fmac_f64_e32 v[54:55], -0.5, v[40:41]
	v_add_f64 v[40:41], v[86:87], -v[38:39]
	v_add_f64 v[42:43], v[92:93], v[96:97]
	v_add_lshl_u32 v82, v212, v1, 4
	v_mul_u32_u24_e32 v1, 51, v45
	v_add_f64 v[32:33], v[32:33], v[38:39]
	v_fma_f64 v[38:39], s[14:15], v[40:41], v[54:55]
	v_fmac_f64_e32 v[54:55], s[0:1], v[40:41]
	v_add_f64 v[40:41], v[48:49], v[92:93]
	v_fmac_f64_e32 v[48:49], -0.5, v[42:43]
	v_add_f64 v[42:43], v[94:95], -v[98:99]
	v_add_f64 v[46:47], v[94:95], v[98:99]
	v_add_u32_sdwa v1, v1, v100 dst_sel:DWORD dst_unused:UNUSED_PAD src0_sel:DWORD src1_sel:BYTE_0
	v_fma_f64 v[64:65], s[0:1], v[42:43], v[48:49]
	v_fmac_f64_e32 v[48:49], s[14:15], v[42:43]
	v_add_f64 v[42:43], v[50:51], v[94:95]
	v_fmac_f64_e32 v[50:51], -0.5, v[46:47]
	v_add_f64 v[46:47], v[92:93], -v[96:97]
	v_add_lshl_u32 v83, v212, v1, 4
	v_mul_u32_u24_e32 v1, 51, v101
	v_fma_f64 v[66:67], s[14:15], v[46:47], v[50:51]
	v_fmac_f64_e32 v[50:51], s[0:1], v[46:47]
	v_add_u32_sdwa v1, v1, v102 dst_sel:DWORD dst_unused:UNUSED_PAD src0_sel:DWORD src1_sel:BYTE_0
	s_movk_i32 s0, 0xffcd
	v_add_f64 v[10:11], v[10:11], v[72:73]
	v_add_f64 v[26:27], v[26:27], v[84:85]
	v_add_lshl_u32 v84, v212, v1, 4
	v_mad_legacy_u16 v1, v103, 51, v104
	s_mov_b32 s1, -1
	ds_write_b128 v82, v[8:11]
	ds_write_b128 v82, v[12:15] offset:272
	ds_write_b128 v82, v[4:7] offset:544
	v_add_lshl_u32 v85, v212, v1, 4
	v_mad_legacy_u16 v1, v105, 51, v106
	v_lshl_add_u64 v[4:5], v[240:241], 0, s[0:1]
	s_movk_i32 s0, 0xa1
	v_add_lshl_u32 v86, v212, v1, 4
	v_mul_lo_u16_sdwa v1, v2, s0 dst_sel:DWORD dst_unused:UNUSED_PAD src0_sel:BYTE_0 src1_sel:DWORD
	v_cndmask_b32_e64 v5, v5, 0, vcc
	v_cndmask_b32_e32 v4, v4, v240, vcc
	v_lshrrev_b16_e32 v1, 13, v1
	v_lshlrev_b64 v[6:7], 6, v[4:5]
	v_mul_lo_u16_e32 v3, 51, v1
	v_add_f64 v[16:17], v[16:17], v[78:79]
	v_add_f64 v[18:19], v[18:19], v[70:71]
	;; [unrolled: 1-line block ×5, first 2 shown]
	v_lshl_add_u64 v[6:7], s[10:11], 0, v[6:7]
	v_sub_u16_e32 v3, v2, v3
	v_mov_b32_e32 v5, 6
	ds_write_b128 v83, v[16:19]
	ds_write_b128 v83, v[20:23] offset:272
	ds_write_b128 v83, v[60:63] offset:544
	ds_write_b128 v84, v[24:27]
	ds_write_b128 v84, v[28:31] offset:272
	ds_write_b128 v84, v[56:59] offset:544
	;; [unrolled: 3-line block ×4, first 2 shown]
	s_waitcnt lgkmcnt(0)
	s_barrier
	global_load_dwordx4 v[54:57], v[6:7], off offset:544
	global_load_dwordx4 v[48:51], v[6:7], off offset:560
	;; [unrolled: 1-line block ×4, first 2 shown]
	v_lshlrev_b32_sdwa v6, v5, v3 dst_sel:DWORD dst_unused:UNUSED_PAD src0_sel:DWORD src1_sel:BYTE_0
	global_load_dwordx4 v[70:73], v6, s[10:11] offset:544
	global_load_dwordx4 v[66:69], v6, s[10:11] offset:560
	;; [unrolled: 1-line block ×4, first 2 shown]
	v_mul_lo_u16_sdwa v6, v0, s0 dst_sel:DWORD dst_unused:UNUSED_PAD src0_sel:BYTE_0 src1_sel:DWORD
	v_lshrrev_b16_e32 v45, 13, v6
	v_mul_lo_u16_e32 v6, 51, v45
	v_sub_u16_e32 v52, v0, v6
	v_lshlrev_b32_sdwa v5, v5, v52 dst_sel:DWORD dst_unused:UNUSED_PAD src0_sel:DWORD src1_sel:BYTE_0
	global_load_dwordx4 v[140:143], v5, s[10:11] offset:544
	global_load_dwordx4 v[120:123], v5, s[10:11] offset:560
	;; [unrolled: 1-line block ×4, first 2 shown]
	v_accvgpr_write_b32 a36, v108
	v_accvgpr_write_b32 a37, v109
	;; [unrolled: 1-line block ×4, first 2 shown]
	ds_read_b128 v[104:107], v44
	ds_read_b128 v[100:103], v44 offset:1360
	ds_read_b128 v[6:9], v44 offset:8160
	;; [unrolled: 1-line block ×14, first 2 shown]
	s_mov_b32 s14, 0x134454ff
	s_mov_b32 s15, 0x3fee6f0e
	;; [unrolled: 1-line block ×6, first 2 shown]
	v_mul_u32_u24_e32 v1, 0xff, v1
	v_mov_b32_e32 v5, 0xff
	v_cmp_lt_u16_e32 vcc, 50, v240
	v_add_u32_sdwa v1, v1, v3 dst_sel:DWORD dst_unused:UNUSED_PAD src0_sel:DWORD src1_sel:BYTE_0
	v_add_lshl_u32 v241, v212, v1, 4
	v_cndmask_b32_e32 v5, 0, v5, vcc
	v_mul_u32_u24_e32 v1, 0xff, v45
	v_add_u32_e32 v4, v4, v5
	v_add_u32_sdwa v1, v1, v52 dst_sel:DWORD dst_unused:UNUSED_PAD src0_sel:DWORD src1_sel:BYTE_0
	v_add_lshl_u32 v87, v212, v4, 4
	v_add_lshl_u32 v212, v212, v1, 4
	v_lshlrev_b32_e32 v1, 6, v240
	s_waitcnt lgkmcnt(0)
	s_barrier
	v_lshlrev_b32_e32 v0, 6, v0
	v_lshl_add_u32 v45, v240, 4, v213
	s_waitcnt vmcnt(11)
	v_mul_f64 v[42:43], v[24:25], v[56:57]
	v_fma_f64 v[42:43], v[22:23], v[54:55], -v[42:43]
	v_mul_f64 v[22:23], v[22:23], v[56:57]
	v_fmac_f64_e32 v[22:23], v[24:25], v[54:55]
	s_waitcnt vmcnt(10)
	v_mul_f64 v[24:25], v[8:9], v[50:51]
	v_fma_f64 v[24:25], v[6:7], v[48:49], -v[24:25]
	v_mul_f64 v[46:47], v[6:7], v[50:51]
	v_accvgpr_write_b32 a59, v51
	s_waitcnt vmcnt(8)
	v_mul_f64 v[6:7], v[36:37], v[94:95]
	v_accvgpr_write_b32 a58, v50
	v_accvgpr_write_b32 a57, v49
	;; [unrolled: 1-line block ×3, first 2 shown]
	v_fmac_f64_e32 v[46:47], v[8:9], v[48:49]
	v_fma_f64 v[48:49], v[34:35], v[92:93], -v[6:7]
	v_mul_f64 v[34:35], v[34:35], v[94:95]
	v_mul_f64 v[6:7], v[16:17], v[90:91]
	v_fmac_f64_e32 v[34:35], v[36:37], v[92:93]
	v_fma_f64 v[36:37], v[14:15], v[88:89], -v[6:7]
	s_waitcnt vmcnt(7)
	v_mul_f64 v[6:7], v[28:29], v[72:73]
	v_fma_f64 v[124:125], v[26:27], v[70:71], -v[6:7]
	v_mul_f64 v[126:127], v[26:27], v[72:73]
	s_waitcnt vmcnt(6)
	v_mul_f64 v[6:7], v[12:13], v[68:69]
	v_add_f64 v[26:27], v[104:105], v[42:43]
	v_fma_f64 v[128:129], v[10:11], v[66:67], -v[6:7]
	s_waitcnt vmcnt(5)
	v_mul_f64 v[6:7], v[110:111], v[64:65]
	v_add_f64 v[26:27], v[26:27], v[24:25]
	v_mul_f64 v[50:51], v[14:15], v[90:91]
	v_mul_f64 v[130:131], v[10:11], v[68:69]
	v_fma_f64 v[132:133], v[108:109], v[62:63], -v[6:7]
	s_waitcnt vmcnt(4)
	v_mul_f64 v[6:7], v[20:21], v[60:61]
	s_waitcnt vmcnt(1)
	v_mul_f64 v[10:11], v[114:115], v[80:81]
	v_add_f64 v[26:27], v[26:27], v[48:49]
	v_fmac_f64_e32 v[50:51], v[16:17], v[88:89]
	v_fma_f64 v[136:137], v[18:19], v[58:59], -v[6:7]
	v_mul_f64 v[138:139], v[18:19], v[60:61]
	v_mul_f64 v[6:7], v[32:33], v[142:143]
	v_fma_f64 v[18:19], v[112:113], v[78:79], -v[10:11]
	v_mul_f64 v[10:11], v[112:113], v[80:81]
	v_add_f64 v[112:113], v[26:27], v[36:37]
	v_add_f64 v[26:27], v[24:25], v[48:49]
	v_fmac_f64_e32 v[130:131], v[12:13], v[66:67]
	v_mul_f64 v[134:135], v[108:109], v[64:65]
	v_fma_f64 v[14:15], v[30:31], v[140:141], -v[6:7]
	v_mul_f64 v[6:7], v[30:31], v[142:143]
	s_waitcnt vmcnt(0)
	v_mul_f64 v[12:13], v[118:119], v[76:77]
	v_fma_f64 v[108:109], -0.5, v[26:27], v[104:105]
	v_add_f64 v[26:27], v[22:23], -v[50:51]
	v_fmac_f64_e32 v[126:127], v[28:29], v[70:71]
	v_fmac_f64_e32 v[138:139], v[20:21], v[58:59]
	;; [unrolled: 1-line block ×3, first 2 shown]
	v_fma_f64 v[20:21], v[116:117], v[74:75], -v[12:13]
	v_mul_f64 v[12:13], v[116:117], v[76:77]
	v_fma_f64 v[116:117], s[14:15], v[26:27], v[108:109]
	v_add_f64 v[28:29], v[46:47], -v[34:35]
	v_add_f64 v[30:31], v[42:43], -v[24:25]
	;; [unrolled: 1-line block ×3, first 2 shown]
	v_fmac_f64_e32 v[108:109], s[18:19], v[26:27]
	v_fmac_f64_e32 v[116:117], s[0:1], v[28:29]
	v_add_f64 v[30:31], v[30:31], v[32:33]
	v_fmac_f64_e32 v[108:109], s[20:21], v[28:29]
	v_mul_f64 v[8:9], v[40:41], v[122:123]
	v_fmac_f64_e32 v[116:117], s[16:17], v[30:31]
	v_fmac_f64_e32 v[108:109], s[16:17], v[30:31]
	v_add_f64 v[30:31], v[42:43], v[36:37]
	v_fma_f64 v[16:17], v[38:39], v[120:121], -v[8:9]
	v_mul_f64 v[8:9], v[38:39], v[122:123]
	v_accvgpr_write_b32 a88, v120
	v_fmac_f64_e32 v[104:105], -0.5, v[30:31]
	v_accvgpr_write_b32 a89, v121
	v_accvgpr_write_b32 a90, v122
	;; [unrolled: 1-line block ×3, first 2 shown]
	v_fmac_f64_e32 v[8:9], v[40:41], v[120:121]
	v_fma_f64 v[120:121], s[18:19], v[28:29], v[104:105]
	v_fmac_f64_e32 v[104:105], s[14:15], v[28:29]
	v_fmac_f64_e32 v[120:121], s[0:1], v[26:27]
	;; [unrolled: 1-line block ×3, first 2 shown]
	v_add_f64 v[26:27], v[106:107], v[22:23]
	v_add_f64 v[26:27], v[26:27], v[46:47]
	;; [unrolled: 1-line block ×3, first 2 shown]
	v_fmac_f64_e32 v[10:11], v[114:115], v[78:79]
	v_add_f64 v[30:31], v[24:25], -v[42:43]
	v_add_f64 v[32:33], v[48:49], -v[36:37]
	v_add_f64 v[114:115], v[26:27], v[50:51]
	v_add_f64 v[26:27], v[46:47], v[34:35]
	v_fmac_f64_e32 v[134:135], v[110:111], v[62:63]
	v_add_f64 v[30:31], v[30:31], v[32:33]
	v_fma_f64 v[110:111], -0.5, v[26:27], v[106:107]
	v_add_f64 v[26:27], v[42:43], -v[36:37]
	v_fmac_f64_e32 v[12:13], v[118:119], v[74:75]
	v_fmac_f64_e32 v[120:121], s[16:17], v[30:31]
	;; [unrolled: 1-line block ×3, first 2 shown]
	v_fma_f64 v[118:119], s[18:19], v[26:27], v[110:111]
	v_add_f64 v[24:25], v[24:25], -v[48:49]
	v_add_f64 v[28:29], v[22:23], -v[46:47]
	;; [unrolled: 1-line block ×3, first 2 shown]
	v_fmac_f64_e32 v[110:111], s[14:15], v[26:27]
	v_fmac_f64_e32 v[118:119], s[20:21], v[24:25]
	v_add_f64 v[28:29], v[28:29], v[30:31]
	v_fmac_f64_e32 v[110:111], s[0:1], v[24:25]
	v_fmac_f64_e32 v[118:119], s[16:17], v[28:29]
	;; [unrolled: 1-line block ×3, first 2 shown]
	v_add_f64 v[28:29], v[22:23], v[50:51]
	v_fmac_f64_e32 v[106:107], -0.5, v[28:29]
	v_fma_f64 v[122:123], s[14:15], v[24:25], v[106:107]
	v_fmac_f64_e32 v[106:107], s[18:19], v[24:25]
	v_add_f64 v[24:25], v[128:129], v[132:133]
	v_fmac_f64_e32 v[122:123], s[20:21], v[26:27]
	v_add_f64 v[22:23], v[46:47], -v[22:23]
	v_add_f64 v[28:29], v[34:35], -v[50:51]
	v_fmac_f64_e32 v[106:107], s[0:1], v[26:27]
	v_fma_f64 v[26:27], -0.5, v[24:25], v[100:101]
	v_add_f64 v[24:25], v[126:127], -v[138:139]
	v_add_f64 v[22:23], v[22:23], v[28:29]
	v_fma_f64 v[30:31], s[14:15], v[24:25], v[26:27]
	v_add_f64 v[28:29], v[130:131], -v[134:135]
	v_add_f64 v[32:33], v[124:125], -v[128:129]
	;; [unrolled: 1-line block ×3, first 2 shown]
	v_fmac_f64_e32 v[26:27], s[18:19], v[24:25]
	v_fmac_f64_e32 v[30:31], s[0:1], v[28:29]
	v_add_f64 v[32:33], v[32:33], v[34:35]
	v_fmac_f64_e32 v[26:27], s[20:21], v[28:29]
	v_fmac_f64_e32 v[30:31], s[16:17], v[32:33]
	;; [unrolled: 1-line block ×3, first 2 shown]
	v_add_f64 v[32:33], v[124:125], v[136:137]
	v_fmac_f64_e32 v[122:123], s[16:17], v[22:23]
	v_fmac_f64_e32 v[106:107], s[16:17], v[22:23]
	v_add_f64 v[22:23], v[100:101], v[124:125]
	v_fmac_f64_e32 v[100:101], -0.5, v[32:33]
	v_fma_f64 v[34:35], s[18:19], v[28:29], v[100:101]
	v_add_f64 v[32:33], v[128:129], -v[124:125]
	v_add_f64 v[36:37], v[132:133], -v[136:137]
	v_fmac_f64_e32 v[100:101], s[14:15], v[28:29]
	v_add_f64 v[28:29], v[130:131], v[134:135]
	v_fmac_f64_e32 v[34:35], s[0:1], v[24:25]
	v_add_f64 v[32:33], v[32:33], v[36:37]
	v_fmac_f64_e32 v[100:101], s[20:21], v[24:25]
	v_fma_f64 v[28:29], -0.5, v[28:29], v[102:103]
	v_add_f64 v[38:39], v[124:125], -v[136:137]
	v_fmac_f64_e32 v[34:35], s[16:17], v[32:33]
	v_fmac_f64_e32 v[100:101], s[16:17], v[32:33]
	v_fma_f64 v[32:33], s[18:19], v[38:39], v[28:29]
	v_add_f64 v[40:41], v[128:129], -v[132:133]
	v_add_f64 v[36:37], v[126:127], -v[130:131]
	;; [unrolled: 1-line block ×3, first 2 shown]
	v_fmac_f64_e32 v[28:29], s[14:15], v[38:39]
	v_fmac_f64_e32 v[32:33], s[20:21], v[40:41]
	v_add_f64 v[36:37], v[36:37], v[42:43]
	v_fmac_f64_e32 v[28:29], s[0:1], v[40:41]
	v_fmac_f64_e32 v[32:33], s[16:17], v[36:37]
	;; [unrolled: 1-line block ×3, first 2 shown]
	v_add_f64 v[36:37], v[126:127], v[138:139]
	v_add_f64 v[24:25], v[102:103], v[126:127]
	v_fmac_f64_e32 v[102:103], -0.5, v[36:37]
	v_fma_f64 v[36:37], s[14:15], v[40:41], v[102:103]
	v_add_f64 v[42:43], v[130:131], -v[126:127]
	v_add_f64 v[46:47], v[134:135], -v[138:139]
	v_fmac_f64_e32 v[102:103], s[18:19], v[40:41]
	v_add_f64 v[40:41], v[16:17], v[18:19]
	v_fmac_f64_e32 v[36:37], s[20:21], v[38:39]
	v_add_f64 v[42:43], v[42:43], v[46:47]
	v_fmac_f64_e32 v[102:103], s[0:1], v[38:39]
	v_fma_f64 v[124:125], -0.5, v[40:41], v[96:97]
	v_add_f64 v[40:41], v[6:7], -v[12:13]
	v_add_f64 v[22:23], v[22:23], v[128:129]
	v_fmac_f64_e32 v[36:37], s[16:17], v[42:43]
	v_fmac_f64_e32 v[102:103], s[16:17], v[42:43]
	v_fma_f64 v[128:129], s[14:15], v[40:41], v[124:125]
	v_add_f64 v[42:43], v[8:9], -v[10:11]
	v_add_f64 v[46:47], v[14:15], -v[16:17]
	;; [unrolled: 1-line block ×3, first 2 shown]
	v_fmac_f64_e32 v[124:125], s[18:19], v[40:41]
	v_fmac_f64_e32 v[128:129], s[0:1], v[42:43]
	v_add_f64 v[46:47], v[46:47], v[48:49]
	v_fmac_f64_e32 v[124:125], s[20:21], v[42:43]
	v_fmac_f64_e32 v[128:129], s[16:17], v[46:47]
	;; [unrolled: 1-line block ×3, first 2 shown]
	v_add_f64 v[46:47], v[14:15], v[20:21]
	v_add_f64 v[38:39], v[96:97], v[14:15]
	v_fmac_f64_e32 v[96:97], -0.5, v[46:47]
	v_add_f64 v[22:23], v[22:23], v[132:133]
	v_add_f64 v[38:39], v[38:39], v[16:17]
	v_fma_f64 v[132:133], s[18:19], v[42:43], v[96:97]
	v_fmac_f64_e32 v[96:97], s[14:15], v[42:43]
	v_add_f64 v[42:43], v[8:9], v[10:11]
	v_add_f64 v[38:39], v[38:39], v[18:19]
	v_add_f64 v[46:47], v[16:17], -v[14:15]
	v_fma_f64 v[126:127], -0.5, v[42:43], v[98:99]
	v_add_f64 v[14:15], v[14:15], -v[20:21]
	v_add_f64 v[24:25], v[24:25], v[130:131]
	v_add_f64 v[38:39], v[38:39], v[20:21]
	v_add_f64 v[48:49], v[18:19], -v[20:21]
	v_fma_f64 v[130:131], s[18:19], v[14:15], v[126:127]
	v_add_f64 v[16:17], v[16:17], -v[18:19]
	v_add_f64 v[18:19], v[6:7], -v[8:9]
	;; [unrolled: 1-line block ×3, first 2 shown]
	v_fmac_f64_e32 v[126:127], s[14:15], v[14:15]
	v_fmac_f64_e32 v[130:131], s[20:21], v[16:17]
	v_add_f64 v[18:19], v[18:19], v[20:21]
	v_fmac_f64_e32 v[126:127], s[0:1], v[16:17]
	v_fmac_f64_e32 v[130:131], s[16:17], v[18:19]
	;; [unrolled: 1-line block ×3, first 2 shown]
	v_add_f64 v[18:19], v[6:7], v[12:13]
	v_fmac_f64_e32 v[132:133], s[0:1], v[40:41]
	v_fmac_f64_e32 v[96:97], s[20:21], v[40:41]
	v_add_f64 v[40:41], v[98:99], v[6:7]
	v_fmac_f64_e32 v[98:99], -0.5, v[18:19]
	v_add_f64 v[24:25], v[24:25], v[134:135]
	v_add_f64 v[40:41], v[40:41], v[8:9]
	v_fma_f64 v[134:135], s[14:15], v[16:17], v[98:99]
	v_add_f64 v[6:7], v[8:9], -v[6:7]
	v_add_f64 v[8:9], v[10:11], -v[12:13]
	v_fmac_f64_e32 v[98:99], s[18:19], v[16:17]
	v_add_f64 v[46:47], v[46:47], v[48:49]
	v_add_f64 v[40:41], v[40:41], v[10:11]
	;; [unrolled: 1-line block ×3, first 2 shown]
	v_fmac_f64_e32 v[98:99], s[0:1], v[14:15]
	v_add_f64 v[22:23], v[22:23], v[136:137]
	v_add_f64 v[24:25], v[24:25], v[138:139]
	v_fmac_f64_e32 v[96:97], s[16:17], v[46:47]
	v_add_f64 v[40:41], v[40:41], v[12:13]
	v_fmac_f64_e32 v[134:135], s[20:21], v[14:15]
	v_fmac_f64_e32 v[98:99], s[16:17], v[6:7]
	;; [unrolled: 1-line block ×4, first 2 shown]
	ds_write_b128 v87, v[112:115]
	ds_write_b128 v87, v[116:119] offset:816
	ds_write_b128 v87, v[120:123] offset:1632
	ds_write_b128 v87, v[104:107] offset:2448
	ds_write_b128 v87, v[108:111] offset:3264
	ds_write_b128 v241, v[22:25]
	ds_write_b128 v241, v[30:33] offset:816
	ds_write_b128 v241, v[34:37] offset:1632
	ds_write_b128 v241, v[100:103] offset:2448
	ds_write_b128 v241, v[26:29] offset:3264
	;; [unrolled: 5-line block ×3, first 2 shown]
	s_waitcnt lgkmcnt(0)
	s_barrier
	global_load_dwordx4 v[108:111], v1, s[10:11] offset:3808
	global_load_dwordx4 v[104:107], v1, s[10:11] offset:3824
	;; [unrolled: 1-line block ×4, first 2 shown]
	v_lshlrev_b32_e32 v1, 6, v2
	global_load_dwordx4 v[124:127], v1, s[10:11] offset:3808
	global_load_dwordx4 v[120:123], v1, s[10:11] offset:3824
	;; [unrolled: 1-line block ×4, first 2 shown]
	v_accvgpr_write_b32 a92, v140
	v_accvgpr_write_b32 a93, v141
	;; [unrolled: 1-line block ×4, first 2 shown]
	global_load_dwordx4 v[140:143], v0, s[10:11] offset:3808
	global_load_dwordx4 v[136:139], v0, s[10:11] offset:3824
	;; [unrolled: 1-line block ×4, first 2 shown]
	ds_read_b128 v[144:147], v44
	ds_read_b128 v[148:151], v44 offset:1360
	ds_read_b128 v[0:3], v44 offset:8160
	ds_read_b128 v[4:7], v44 offset:9520
	ds_read_b128 v[8:11], v44 offset:16320
	ds_read_b128 v[12:15], v44 offset:17680
	ds_read_b128 v[16:19], v44 offset:4080
	ds_read_b128 v[164:167], v44 offset:2720
	ds_read_b128 v[20:23], v44 offset:5440
	ds_read_b128 v[24:27], v44 offset:6800
	ds_read_b128 v[28:31], v44 offset:12240
	ds_read_b128 v[32:35], v44 offset:10880
	ds_read_b128 v[36:39], v44 offset:13600
	ds_read_b128 v[40:43], v44 offset:14960
	ds_read_b128 v[152:155], v44 offset:19040
	v_accvgpr_write_b32 a63, v57
	v_accvgpr_write_b32 a79, v73
	;; [unrolled: 1-line block ×28, first 2 shown]
	s_waitcnt vmcnt(11) lgkmcnt(8)
	v_mul_f64 v[46:47], v[18:19], v[110:111]
	v_fma_f64 v[46:47], v[16:17], v[108:109], -v[46:47]
	v_mul_f64 v[16:17], v[16:17], v[110:111]
	v_fmac_f64_e32 v[16:17], v[18:19], v[108:109]
	s_waitcnt vmcnt(10)
	v_mul_f64 v[18:19], v[2:3], v[106:107]
	v_fma_f64 v[18:19], v[0:1], v[104:105], -v[18:19]
	v_mul_f64 v[48:49], v[0:1], v[106:107]
	s_waitcnt vmcnt(9) lgkmcnt(4)
	v_mul_f64 v[0:1], v[30:31], v[102:103]
	v_fma_f64 v[170:171], v[28:29], v[100:101], -v[0:1]
	v_mul_f64 v[28:29], v[28:29], v[102:103]
	s_waitcnt vmcnt(8)
	v_mul_f64 v[0:1], v[10:11], v[98:99]
	v_fmac_f64_e32 v[28:29], v[30:31], v[100:101]
	v_fma_f64 v[30:31], v[8:9], v[96:97], -v[0:1]
	s_waitcnt vmcnt(7)
	v_mul_f64 v[0:1], v[22:23], v[126:127]
	v_fma_f64 v[178:179], v[20:21], v[124:125], -v[0:1]
	v_mul_f64 v[20:21], v[20:21], v[126:127]
	s_waitcnt vmcnt(6)
	v_mul_f64 v[0:1], v[6:7], v[122:123]
	v_fmac_f64_e32 v[20:21], v[22:23], v[124:125]
	v_fma_f64 v[22:23], v[4:5], v[120:121], -v[0:1]
	s_waitcnt vmcnt(5) lgkmcnt(2)
	v_mul_f64 v[0:1], v[38:39], v[118:119]
	v_fma_f64 v[186:187], v[36:37], v[116:117], -v[0:1]
	v_mul_f64 v[36:37], v[36:37], v[118:119]
	s_waitcnt vmcnt(4)
	v_mul_f64 v[0:1], v[14:15], v[114:115]
	v_fmac_f64_e32 v[36:37], v[38:39], v[116:117]
	v_fma_f64 v[38:39], v[12:13], v[112:113], -v[0:1]
	s_waitcnt vmcnt(3)
	v_mul_f64 v[0:1], v[26:27], v[142:143]
	v_mul_f64 v[172:173], v[8:9], v[98:99]
	v_fma_f64 v[8:9], v[24:25], v[140:141], -v[0:1]
	v_mul_f64 v[0:1], v[24:25], v[142:143]
	v_add_f64 v[24:25], v[144:145], v[46:47]
	v_mul_f64 v[188:189], v[4:5], v[122:123]
	v_add_f64 v[24:25], v[24:25], v[18:19]
	v_fmac_f64_e32 v[188:189], v[6:7], v[120:121]
	v_mul_f64 v[190:191], v[12:13], v[114:115]
	s_waitcnt vmcnt(0) lgkmcnt(0)
	v_mul_f64 v[6:7], v[154:155], v[130:131]
	v_add_f64 v[24:25], v[24:25], v[170:171]
	v_fmac_f64_e32 v[48:49], v[2:3], v[104:105]
	v_fmac_f64_e32 v[172:173], v[10:11], v[96:97]
	;; [unrolled: 1-line block ×3, first 2 shown]
	v_mul_f64 v[2:3], v[34:35], v[138:139]
	v_fma_f64 v[14:15], v[152:153], v[128:129], -v[6:7]
	v_mul_f64 v[6:7], v[152:153], v[130:131]
	v_add_f64 v[152:153], v[24:25], v[30:31]
	v_add_f64 v[24:25], v[18:19], v[170:171]
	v_fma_f64 v[10:11], v[32:33], v[136:137], -v[2:3]
	v_mul_f64 v[2:3], v[32:33], v[138:139]
	v_fma_f64 v[160:161], -0.5, v[24:25], v[144:145]
	v_add_f64 v[24:25], v[16:17], -v[172:173]
	v_fmac_f64_e32 v[0:1], v[26:27], v[140:141]
	v_fmac_f64_e32 v[2:3], v[34:35], v[136:137]
	v_fma_f64 v[156:157], s[14:15], v[24:25], v[160:161]
	v_add_f64 v[26:27], v[48:49], -v[28:29]
	v_add_f64 v[32:33], v[46:47], -v[18:19]
	;; [unrolled: 1-line block ×3, first 2 shown]
	v_fmac_f64_e32 v[160:161], s[18:19], v[24:25]
	v_fmac_f64_e32 v[156:157], s[0:1], v[26:27]
	v_add_f64 v[32:33], v[32:33], v[34:35]
	v_fmac_f64_e32 v[160:161], s[20:21], v[26:27]
	v_fmac_f64_e32 v[156:157], s[16:17], v[32:33]
	;; [unrolled: 1-line block ×3, first 2 shown]
	v_add_f64 v[32:33], v[46:47], v[30:31]
	v_fmac_f64_e32 v[144:145], -0.5, v[32:33]
	v_fma_f64 v[168:169], s[18:19], v[26:27], v[144:145]
	v_fmac_f64_e32 v[144:145], s[14:15], v[26:27]
	v_fmac_f64_e32 v[168:169], s[0:1], v[24:25]
	;; [unrolled: 1-line block ×3, first 2 shown]
	v_add_f64 v[24:25], v[146:147], v[16:17]
	v_add_f64 v[24:25], v[24:25], v[48:49]
	;; [unrolled: 1-line block ×3, first 2 shown]
	v_fmac_f64_e32 v[6:7], v[154:155], v[128:129]
	v_add_f64 v[154:155], v[24:25], v[172:173]
	v_add_f64 v[24:25], v[48:49], v[28:29]
	v_fma_f64 v[162:163], -0.5, v[24:25], v[146:147]
	v_add_f64 v[24:25], v[46:47], -v[30:31]
	v_add_f64 v[32:33], v[18:19], -v[46:47]
	;; [unrolled: 1-line block ×3, first 2 shown]
	v_fma_f64 v[158:159], s[18:19], v[24:25], v[162:163]
	v_add_f64 v[18:19], v[18:19], -v[170:171]
	v_add_f64 v[26:27], v[16:17], -v[48:49]
	;; [unrolled: 1-line block ×3, first 2 shown]
	v_fmac_f64_e32 v[162:163], s[14:15], v[24:25]
	v_fmac_f64_e32 v[158:159], s[20:21], v[18:19]
	v_add_f64 v[26:27], v[26:27], v[30:31]
	v_fmac_f64_e32 v[162:163], s[0:1], v[18:19]
	v_fmac_f64_e32 v[158:159], s[16:17], v[26:27]
	;; [unrolled: 1-line block ×3, first 2 shown]
	v_add_f64 v[26:27], v[16:17], v[172:173]
	v_fmac_f64_e32 v[146:147], -0.5, v[26:27]
	v_fma_f64 v[170:171], s[14:15], v[18:19], v[146:147]
	v_add_f64 v[16:17], v[48:49], -v[16:17]
	v_add_f64 v[26:27], v[28:29], -v[172:173]
	v_fmac_f64_e32 v[146:147], s[18:19], v[18:19]
	v_fmac_f64_e32 v[170:171], s[20:21], v[24:25]
	v_add_f64 v[16:17], v[16:17], v[26:27]
	v_fmac_f64_e32 v[146:147], s[0:1], v[24:25]
	v_fmac_f64_e32 v[170:171], s[16:17], v[16:17]
	;; [unrolled: 1-line block ×3, first 2 shown]
	v_add_f64 v[16:17], v[148:149], v[178:179]
	v_add_f64 v[16:17], v[16:17], v[22:23]
	;; [unrolled: 1-line block ×5, first 2 shown]
	v_fma_f64 v[180:181], -0.5, v[16:17], v[148:149]
	v_add_f64 v[16:17], v[20:21], -v[190:191]
	v_fma_f64 v[176:177], s[14:15], v[16:17], v[180:181]
	v_add_f64 v[18:19], v[188:189], -v[36:37]
	v_add_f64 v[24:25], v[178:179], -v[22:23]
	v_add_f64 v[26:27], v[38:39], -v[186:187]
	v_fmac_f64_e32 v[180:181], s[18:19], v[16:17]
	v_fmac_f64_e32 v[176:177], s[0:1], v[18:19]
	v_add_f64 v[24:25], v[24:25], v[26:27]
	v_fmac_f64_e32 v[180:181], s[20:21], v[18:19]
	v_fmac_f64_e32 v[176:177], s[16:17], v[24:25]
	;; [unrolled: 1-line block ×3, first 2 shown]
	v_add_f64 v[24:25], v[178:179], v[38:39]
	v_fmac_f64_e32 v[148:149], -0.5, v[24:25]
	v_fma_f64 v[184:185], s[18:19], v[18:19], v[148:149]
	v_fmac_f64_e32 v[148:149], s[14:15], v[18:19]
	v_fmac_f64_e32 v[184:185], s[0:1], v[16:17]
	;; [unrolled: 1-line block ×3, first 2 shown]
	v_add_f64 v[16:17], v[150:151], v[20:21]
	v_add_f64 v[16:17], v[16:17], v[188:189]
	;; [unrolled: 1-line block ×3, first 2 shown]
	v_add_f64 v[24:25], v[22:23], -v[178:179]
	v_add_f64 v[26:27], v[186:187], -v[38:39]
	v_add_f64 v[174:175], v[16:17], v[190:191]
	v_add_f64 v[16:17], v[188:189], v[36:37]
	;; [unrolled: 1-line block ×3, first 2 shown]
	v_fma_f64 v[182:183], -0.5, v[16:17], v[150:151]
	v_add_f64 v[16:17], v[178:179], -v[38:39]
	v_fmac_f64_e32 v[184:185], s[16:17], v[24:25]
	v_fmac_f64_e32 v[148:149], s[16:17], v[24:25]
	v_fma_f64 v[178:179], s[18:19], v[16:17], v[182:183]
	v_add_f64 v[18:19], v[22:23], -v[186:187]
	v_add_f64 v[22:23], v[20:21], -v[188:189]
	;; [unrolled: 1-line block ×3, first 2 shown]
	v_fmac_f64_e32 v[182:183], s[14:15], v[16:17]
	v_fmac_f64_e32 v[178:179], s[20:21], v[18:19]
	v_add_f64 v[22:23], v[22:23], v[24:25]
	v_fmac_f64_e32 v[182:183], s[0:1], v[18:19]
	v_fmac_f64_e32 v[178:179], s[16:17], v[22:23]
	;; [unrolled: 1-line block ×3, first 2 shown]
	v_add_f64 v[22:23], v[20:21], v[190:191]
	v_fmac_f64_e32 v[150:151], -0.5, v[22:23]
	v_fma_f64 v[186:187], s[14:15], v[18:19], v[150:151]
	v_fmac_f64_e32 v[150:151], s[18:19], v[18:19]
	v_mul_f64 v[4:5], v[42:43], v[134:135]
	v_fmac_f64_e32 v[186:187], s[20:21], v[16:17]
	v_fmac_f64_e32 v[150:151], s[0:1], v[16:17]
	v_add_f64 v[16:17], v[164:165], v[8:9]
	v_fma_f64 v[12:13], v[40:41], v[132:133], -v[4:5]
	v_add_f64 v[16:17], v[16:17], v[10:11]
	v_add_f64 v[16:17], v[16:17], v[12:13]
	v_mul_f64 v[4:5], v[40:41], v[134:135]
	v_add_f64 v[20:21], v[188:189], -v[20:21]
	v_add_f64 v[22:23], v[36:37], -v[190:191]
	v_add_f64 v[188:189], v[16:17], v[14:15]
	v_add_f64 v[16:17], v[10:11], v[12:13]
	v_fmac_f64_e32 v[4:5], v[42:43], v[132:133]
	v_add_f64 v[20:21], v[20:21], v[22:23]
	v_fma_f64 v[196:197], -0.5, v[16:17], v[164:165]
	v_add_f64 v[16:17], v[0:1], -v[6:7]
	v_fmac_f64_e32 v[186:187], s[16:17], v[20:21]
	v_fmac_f64_e32 v[150:151], s[16:17], v[20:21]
	v_fma_f64 v[192:193], s[14:15], v[16:17], v[196:197]
	v_add_f64 v[18:19], v[2:3], -v[4:5]
	v_add_f64 v[20:21], v[8:9], -v[10:11]
	;; [unrolled: 1-line block ×3, first 2 shown]
	v_fmac_f64_e32 v[196:197], s[18:19], v[16:17]
	v_fmac_f64_e32 v[192:193], s[0:1], v[18:19]
	v_add_f64 v[20:21], v[20:21], v[22:23]
	v_fmac_f64_e32 v[196:197], s[20:21], v[18:19]
	v_fmac_f64_e32 v[192:193], s[16:17], v[20:21]
	;; [unrolled: 1-line block ×3, first 2 shown]
	v_add_f64 v[20:21], v[8:9], v[14:15]
	v_fmac_f64_e32 v[164:165], -0.5, v[20:21]
	v_fma_f64 v[200:201], s[18:19], v[18:19], v[164:165]
	v_fmac_f64_e32 v[164:165], s[14:15], v[18:19]
	v_fmac_f64_e32 v[200:201], s[0:1], v[16:17]
	;; [unrolled: 1-line block ×3, first 2 shown]
	v_add_f64 v[16:17], v[166:167], v[0:1]
	v_add_f64 v[16:17], v[16:17], v[2:3]
	;; [unrolled: 1-line block ×5, first 2 shown]
	v_add_f64 v[20:21], v[10:11], -v[8:9]
	v_fma_f64 v[198:199], -0.5, v[16:17], v[166:167]
	v_add_f64 v[8:9], v[8:9], -v[14:15]
	v_add_f64 v[22:23], v[12:13], -v[14:15]
	v_fma_f64 v[194:195], s[18:19], v[8:9], v[198:199]
	v_add_f64 v[10:11], v[10:11], -v[12:13]
	v_add_f64 v[12:13], v[0:1], -v[2:3]
	;; [unrolled: 1-line block ×3, first 2 shown]
	v_fmac_f64_e32 v[198:199], s[14:15], v[8:9]
	v_fmac_f64_e32 v[194:195], s[20:21], v[10:11]
	v_add_f64 v[12:13], v[12:13], v[14:15]
	v_fmac_f64_e32 v[198:199], s[0:1], v[10:11]
	v_fmac_f64_e32 v[194:195], s[16:17], v[12:13]
	;; [unrolled: 1-line block ×3, first 2 shown]
	v_add_f64 v[12:13], v[0:1], v[6:7]
	v_fmac_f64_e32 v[166:167], -0.5, v[12:13]
	v_fma_f64 v[202:203], s[14:15], v[10:11], v[166:167]
	v_add_f64 v[0:1], v[2:3], -v[0:1]
	v_add_f64 v[2:3], v[4:5], -v[6:7]
	v_fmac_f64_e32 v[166:167], s[18:19], v[10:11]
	v_add_f64 v[32:33], v[32:33], v[34:35]
	v_add_f64 v[20:21], v[20:21], v[22:23]
	v_fmac_f64_e32 v[202:203], s[20:21], v[8:9]
	v_add_f64 v[0:1], v[0:1], v[2:3]
	v_fmac_f64_e32 v[166:167], s[0:1], v[8:9]
	v_fmac_f64_e32 v[168:169], s[16:17], v[32:33]
	v_fmac_f64_e32 v[144:145], s[16:17], v[32:33]
	v_fmac_f64_e32 v[200:201], s[16:17], v[20:21]
	v_fmac_f64_e32 v[164:165], s[16:17], v[20:21]
	v_fmac_f64_e32 v[202:203], s[16:17], v[0:1]
	v_fmac_f64_e32 v[166:167], s[16:17], v[0:1]
	ds_write_b128 v243, v[152:155]
	ds_write_b128 v45, v[156:159] offset:4080
	ds_write_b128 v45, v[168:171] offset:8160
	;; [unrolled: 1-line block ×14, first 2 shown]
	s_waitcnt lgkmcnt(0)
	s_barrier
	s_and_saveexec_b64 s[0:1], s[2:3]
	s_cbranch_execz .LBB0_9
; %bb.8:
	v_mov_b32_e32 v239, 0
	v_lshl_add_u64 v[0:1], s[8:9], 0, v[238:239]
	v_add_co_u32_e32 v6, vcc, 0x4000, v0
	ds_read_b128 v[2:5], v243
	s_nop 0
	v_addc_co_u32_e32 v7, vcc, 0, v1, vcc
	global_load_dwordx4 v[6:9], v[6:7], off offset:4016
	s_mov_b64 s[10:11], 0x4fb0
	v_lshl_add_u64 v[14:15], v[0:1], 0, s[10:11]
	s_movk_i32 s10, 0x6000
	s_waitcnt vmcnt(0) lgkmcnt(0)
	v_mul_f64 v[10:11], v[4:5], v[8:9]
	v_mul_f64 v[12:13], v[2:3], v[8:9]
	v_fma_f64 v[10:11], v[2:3], v[6:7], -v[10:11]
	v_fmac_f64_e32 v[12:13], v[4:5], v[6:7]
	global_load_dwordx4 v[6:9], v[14:15], off offset:1200
	ds_write_b128 v243, v[10:13]
	ds_read_b128 v[2:5], v45 offset:1200
	ds_read_b128 v[204:207], v45 offset:19200
	s_waitcnt vmcnt(0) lgkmcnt(1)
	v_mul_f64 v[10:11], v[4:5], v[8:9]
	v_mul_f64 v[12:13], v[2:3], v[8:9]
	v_fma_f64 v[10:11], v[2:3], v[6:7], -v[10:11]
	v_fmac_f64_e32 v[12:13], v[4:5], v[6:7]
	global_load_dwordx4 v[6:9], v[14:15], off offset:2400
	ds_read_b128 v[2:5], v45 offset:2400
	ds_write_b128 v45, v[10:13] offset:1200
	s_waitcnt vmcnt(0) lgkmcnt(1)
	v_mul_f64 v[10:11], v[4:5], v[8:9]
	v_mul_f64 v[12:13], v[2:3], v[8:9]
	v_fma_f64 v[10:11], v[2:3], v[6:7], -v[10:11]
	v_fmac_f64_e32 v[12:13], v[4:5], v[6:7]
	global_load_dwordx4 v[6:9], v[14:15], off offset:3600
	ds_read_b128 v[2:5], v45 offset:3600
	v_add_co_u32_e32 v14, vcc, s10, v0
	ds_write_b128 v45, v[10:13] offset:2400
	s_nop 0
	v_addc_co_u32_e32 v15, vcc, 0, v1, vcc
	s_movk_i32 s10, 0x7000
	s_waitcnt vmcnt(0) lgkmcnt(1)
	v_mul_f64 v[10:11], v[4:5], v[8:9]
	v_mul_f64 v[12:13], v[2:3], v[8:9]
	v_fma_f64 v[10:11], v[2:3], v[6:7], -v[10:11]
	v_fmac_f64_e32 v[12:13], v[4:5], v[6:7]
	global_load_dwordx4 v[6:9], v[14:15], off offset:624
	ds_read_b128 v[2:5], v45 offset:4800
	ds_write_b128 v45, v[10:13] offset:3600
	s_waitcnt vmcnt(0) lgkmcnt(1)
	v_mul_f64 v[10:11], v[4:5], v[8:9]
	v_mul_f64 v[12:13], v[2:3], v[8:9]
	v_fma_f64 v[10:11], v[2:3], v[6:7], -v[10:11]
	v_fmac_f64_e32 v[12:13], v[4:5], v[6:7]
	global_load_dwordx4 v[6:9], v[14:15], off offset:1824
	ds_read_b128 v[2:5], v45 offset:6000
	ds_write_b128 v45, v[10:13] offset:4800
	s_waitcnt vmcnt(0) lgkmcnt(1)
	v_mul_f64 v[10:11], v[4:5], v[8:9]
	v_mul_f64 v[12:13], v[2:3], v[8:9]
	v_fma_f64 v[10:11], v[2:3], v[6:7], -v[10:11]
	v_fmac_f64_e32 v[12:13], v[4:5], v[6:7]
	global_load_dwordx4 v[6:9], v[14:15], off offset:3024
	ds_read_b128 v[2:5], v45 offset:7200
	v_add_co_u32_e32 v14, vcc, s10, v0
	ds_write_b128 v45, v[10:13] offset:6000
	s_nop 0
	v_addc_co_u32_e32 v15, vcc, 0, v1, vcc
	s_mov_b32 s10, 0x8000
	s_waitcnt vmcnt(0) lgkmcnt(1)
	v_mul_f64 v[10:11], v[4:5], v[8:9]
	v_mul_f64 v[12:13], v[2:3], v[8:9]
	v_fma_f64 v[10:11], v[2:3], v[6:7], -v[10:11]
	v_fmac_f64_e32 v[12:13], v[4:5], v[6:7]
	global_load_dwordx4 v[6:9], v[14:15], off offset:128
	ds_read_b128 v[2:5], v45 offset:8400
	ds_write_b128 v45, v[10:13] offset:7200
	s_waitcnt vmcnt(0) lgkmcnt(1)
	v_mul_f64 v[10:11], v[4:5], v[8:9]
	v_mul_f64 v[12:13], v[2:3], v[8:9]
	v_fma_f64 v[10:11], v[2:3], v[6:7], -v[10:11]
	v_fmac_f64_e32 v[12:13], v[4:5], v[6:7]
	global_load_dwordx4 v[6:9], v[14:15], off offset:1328
	ds_read_b128 v[2:5], v45 offset:9600
	ds_write_b128 v45, v[10:13] offset:8400
	;; [unrolled: 8-line block ×3, first 2 shown]
	s_waitcnt vmcnt(0) lgkmcnt(1)
	v_mul_f64 v[10:11], v[4:5], v[8:9]
	v_mul_f64 v[12:13], v[2:3], v[8:9]
	v_fma_f64 v[10:11], v[2:3], v[6:7], -v[10:11]
	v_fmac_f64_e32 v[12:13], v[4:5], v[6:7]
	global_load_dwordx4 v[6:9], v[14:15], off offset:3728
	ds_read_b128 v[2:5], v45 offset:12000
	v_add_co_u32_e32 v14, vcc, s10, v0
	ds_write_b128 v45, v[10:13] offset:10800
	s_nop 0
	v_addc_co_u32_e32 v15, vcc, 0, v1, vcc
	s_mov_b32 s10, 0x9000
	s_waitcnt vmcnt(0) lgkmcnt(1)
	v_mul_f64 v[10:11], v[4:5], v[8:9]
	v_mul_f64 v[12:13], v[2:3], v[8:9]
	v_fma_f64 v[10:11], v[2:3], v[6:7], -v[10:11]
	v_fmac_f64_e32 v[12:13], v[4:5], v[6:7]
	global_load_dwordx4 v[6:9], v[14:15], off offset:832
	ds_read_b128 v[2:5], v45 offset:13200
	ds_write_b128 v45, v[10:13] offset:12000
	s_waitcnt vmcnt(0) lgkmcnt(1)
	v_mul_f64 v[10:11], v[4:5], v[8:9]
	v_mul_f64 v[12:13], v[2:3], v[8:9]
	v_fma_f64 v[10:11], v[2:3], v[6:7], -v[10:11]
	v_fmac_f64_e32 v[12:13], v[4:5], v[6:7]
	global_load_dwordx4 v[6:9], v[14:15], off offset:2032
	ds_read_b128 v[2:5], v45 offset:14400
	ds_write_b128 v45, v[10:13] offset:13200
	;; [unrolled: 8-line block ×3, first 2 shown]
	s_waitcnt vmcnt(0) lgkmcnt(1)
	v_mul_f64 v[10:11], v[4:5], v[8:9]
	v_mul_f64 v[12:13], v[2:3], v[8:9]
	v_fma_f64 v[10:11], v[2:3], v[6:7], -v[10:11]
	v_fmac_f64_e32 v[12:13], v[4:5], v[6:7]
	ds_write_b128 v45, v[10:13] offset:15600
	v_add_co_u32_e32 v12, vcc, s10, v0
	ds_read_b128 v[2:5], v45 offset:16800
	s_nop 0
	v_addc_co_u32_e32 v13, vcc, 0, v1, vcc
	global_load_dwordx4 v[6:9], v[12:13], off offset:336
	global_load_dwordx4 v[208:211], v[12:13], off offset:2736
	s_waitcnt vmcnt(1) lgkmcnt(0)
	v_mul_f64 v[0:1], v[4:5], v[8:9]
	v_fma_f64 v[0:1], v[2:3], v[6:7], -v[0:1]
	v_mul_f64 v[2:3], v[2:3], v[8:9]
	v_fmac_f64_e32 v[2:3], v[4:5], v[6:7]
	global_load_dwordx4 v[4:7], v[12:13], off offset:1536
	ds_write_b128 v45, v[0:3] offset:16800
	ds_read_b128 v[0:3], v45 offset:18000
	s_waitcnt vmcnt(0) lgkmcnt(0)
	v_mul_f64 v[8:9], v[2:3], v[6:7]
	v_mul_f64 v[10:11], v[0:1], v[6:7]
	v_fma_f64 v[8:9], v[0:1], v[4:5], -v[8:9]
	v_fmac_f64_e32 v[10:11], v[2:3], v[4:5]
	v_mul_f64 v[0:1], v[206:207], v[210:211]
	v_mul_f64 v[2:3], v[204:205], v[210:211]
	v_fma_f64 v[0:1], v[204:205], v[208:209], -v[0:1]
	v_fmac_f64_e32 v[2:3], v[206:207], v[208:209]
	ds_write_b128 v45, v[8:11] offset:18000
	ds_write_b128 v45, v[0:3] offset:19200
.LBB0_9:
	s_or_b64 exec, exec, s[0:1]
	s_waitcnt lgkmcnt(0)
	s_barrier
	s_and_saveexec_b64 s[0:1], s[2:3]
	s_cbranch_execz .LBB0_11
; %bb.10:
	ds_read_b128 v[152:155], v243
	ds_read_b128 v[156:159], v243 offset:1200
	ds_read_b128 v[168:171], v243 offset:2400
	;; [unrolled: 1-line block ×16, first 2 shown]
.LBB0_11:
	s_or_b64 exec, exec, s[0:1]
	v_add_u32_e32 v205, 0x550, v45
	v_add_u32_e32 v204, 0xaa0, v45
	s_waitcnt lgkmcnt(0)
	s_barrier
	s_and_saveexec_b64 s[0:1], s[2:3]
	s_cbranch_execz .LBB0_13
; %bb.12:
	s_mov_b32 s36, 0xacd6c6b4
	v_accvgpr_write_b32 a8, v218
	s_mov_b32 s40, 0x5d8e7cdc
	v_add_f64 v[26:27], v[156:157], -v[248:249]
	s_mov_b32 s37, 0xbfc7851a
	s_mov_b32 s30, 0x7faef3
	v_accvgpr_write_b32 a9, v219
	v_accvgpr_write_b32 a10, v220
	;; [unrolled: 1-line block ×4, first 2 shown]
	s_mov_b32 s34, 0x4363dd80
	v_add_f64 v[24:25], v[168:169], -v[244:245]
	s_mov_b32 s41, 0x3fd71e95
	v_accvgpr_write_b32 a24, v234
	s_mov_b32 s26, 0x370991
	v_accvgpr_write_b32 a0, v238
	v_mul_f64 v[238:239], v[26:27], s[36:37]
	v_add_f64 v[220:221], v[158:159], v[250:251]
	s_mov_b32 s31, 0xbfef7484
	v_accvgpr_write_b32 a13, v223
	v_accvgpr_write_b32 a14, v224
	;; [unrolled: 1-line block ×3, first 2 shown]
	s_mov_b32 s46, 0x2a9d6da3
	v_add_f64 v[16:17], v[144:145], -v[196:197]
	s_mov_b32 s35, 0xbfe0d888
	s_mov_b32 s24, 0x910ea3b9
	v_accvgpr_write_b32 a25, v235
	v_accvgpr_write_b32 a26, v236
	;; [unrolled: 1-line block ×3, first 2 shown]
	v_mul_f64 v[236:237], v[24:25], s[40:41]
	v_add_f64 v[222:223], v[170:171], v[246:247]
	s_mov_b32 s27, 0x3fedd6d0
	v_fma_f64 v[32:33], s[30:31], v[220:221], v[238:239]
	s_mov_b32 s28, 0x6c9a05f6
	v_add_f64 v[224:225], v[160:161], -v[164:165]
	s_mov_b32 s47, 0x3fe58eea
	s_mov_b32 s20, 0x75d4884
	v_mul_f64 v[210:211], v[16:17], s[34:35]
	v_add_f64 v[10:11], v[146:147], v[198:199]
	s_mov_b32 s25, 0xbfeb34fa
	v_fma_f64 v[30:31], s[26:27], v[222:223], v[236:237]
	v_add_f64 v[32:33], v[154:155], v[32:33]
	v_accvgpr_write_b32 a52, v92
	v_accvgpr_write_b32 a4, v214
	s_mov_b32 s38, 0x7c9e640b
	v_add_f64 v[218:219], v[172:173], -v[200:201]
	s_mov_b32 s29, 0xbfe9895b
	s_mov_b32 s18, 0x6ed5f1bb
	v_mul_f64 v[208:209], v[224:225], s[46:47]
	v_accvgpr_write_b32 a101, v213
	v_accvgpr_write_b32 a97, v212
	v_add_f64 v[212:213], v[162:163], v[166:167]
	s_mov_b32 s21, 0x3fe7a5f6
	v_fma_f64 v[28:29], s[24:25], v[10:11], v[210:211]
	v_add_f64 v[30:31], v[30:31], v[32:33]
	v_accvgpr_write_b32 a48, v88
	v_accvgpr_write_b32 a53, v93
	;; [unrolled: 1-line block ×4, first 2 shown]
	v_mov_b64_e32 v[92:93], v[248:249]
	v_accvgpr_write_b32 a5, v215
	v_accvgpr_write_b32 a6, v216
	;; [unrolled: 1-line block ×3, first 2 shown]
	s_mov_b32 s22, 0x923c349f
	v_add_f64 v[216:217], v[176:177], -v[192:193]
	s_mov_b32 s39, 0x3feca52d
	s_mov_b32 s16, 0x2b2883cd
	v_mul_f64 v[206:207], v[218:219], s[28:29]
	v_add_f64 v[2:3], v[174:175], v[202:203]
	s_mov_b32 s19, 0xbfe348c8
	v_fma_f64 v[22:23], s[20:21], v[212:213], v[208:209]
	v_add_f64 v[28:29], v[28:29], v[30:31]
	v_accvgpr_write_b32 a49, v89
	v_accvgpr_write_b32 a50, v90
	;; [unrolled: 1-line block ×3, first 2 shown]
	v_mov_b64_e32 v[88:89], v[244:245]
	v_mov_b64_e32 v[94:95], v[250:251]
	s_mov_b32 s50, 0xeb564b22
	v_add_f64 v[8:9], v[184:185], -v[188:189]
	s_mov_b32 s23, 0xbfeec746
	s_mov_b32 s14, 0xc61f0d01
	v_accvgpr_write_b32 a99, v204
	v_accvgpr_write_b32 a100, v205
	v_mul_f64 v[204:205], v[216:217], s[38:39]
	v_add_f64 v[0:1], v[178:179], v[194:195]
	s_mov_b32 s17, 0x3fdc86fa
	v_fma_f64 v[20:21], s[18:19], v[2:3], v[206:207]
	v_add_f64 v[22:23], v[22:23], v[28:29]
	v_mov_b64_e32 v[90:91], v[246:247]
	v_add_f64 v[42:43], v[158:159], -v[94:95]
	v_add_f64 v[214:215], v[148:149], -v[180:181]
	s_mov_b32 s51, 0x3fefdd0d
	s_mov_b32 s10, 0x3259b75e
	v_mul_f64 v[48:49], v[8:9], s[22:23]
	v_add_f64 v[6:7], v[186:187], v[190:191]
	s_mov_b32 s15, 0xbfd183b1
	v_fma_f64 v[18:19], s[16:17], v[0:1], v[204:205]
	v_add_f64 v[20:21], v[20:21], v[22:23]
	v_add_f64 v[40:41], v[170:171], -v[90:91]
	v_add_f64 v[22:23], v[156:157], v[92:93]
	v_mul_f64 v[58:59], v[42:43], s[36:37]
	v_mul_f64 v[46:47], v[214:215], s[50:51]
	v_add_f64 v[4:5], v[150:151], v[182:183]
	s_mov_b32 s11, 0x3fb79ee6
	v_fma_f64 v[14:15], s[14:15], v[6:7], v[48:49]
	v_add_f64 v[18:19], v[18:19], v[20:21]
	v_add_f64 v[38:39], v[146:147], -v[198:199]
	v_add_f64 v[20:21], v[168:169], v[88:89]
	v_mul_f64 v[54:55], v[40:41], s[40:41]
	v_fma_f64 v[60:61], v[22:23], s[30:31], -v[58:59]
	v_fma_f64 v[12:13], s[10:11], v[4:5], v[46:47]
	v_add_f64 v[14:15], v[14:15], v[18:19]
	v_add_f64 v[36:37], v[162:163], -v[166:167]
	v_add_f64 v[18:19], v[144:145], v[196:197]
	v_mul_f64 v[234:235], v[38:39], s[34:35]
	v_fma_f64 v[56:57], v[20:21], s[26:27], -v[54:55]
	v_add_f64 v[60:61], v[152:153], v[60:61]
	v_add_f64 v[62:63], v[12:13], v[14:15]
	v_accvgpr_write_b32 a20, v230
	v_add_f64 v[34:35], v[174:175], -v[202:203]
	v_accvgpr_write_b32 a28, v252
	v_add_f64 v[14:15], v[160:161], v[164:165]
	v_mul_f64 v[50:51], v[36:37], s[46:47]
	v_fma_f64 v[52:53], v[18:19], s[24:25], -v[234:235]
	v_add_f64 v[56:57], v[56:57], v[60:61]
	v_accvgpr_write_b32 a21, v231
	v_accvgpr_write_b32 a22, v232
	;; [unrolled: 1-line block ×4, first 2 shown]
	v_add_f64 v[32:33], v[178:179], -v[194:195]
	v_add_f64 v[12:13], v[172:173], v[200:201]
	v_accvgpr_write_b32 a29, v253
	v_accvgpr_write_b32 a30, v254
	;; [unrolled: 1-line block ×3, first 2 shown]
	v_mul_f64 v[252:253], v[34:35], s[28:29]
	v_fma_f64 v[232:233], v[14:15], s[20:21], -v[50:51]
	v_add_f64 v[52:53], v[52:53], v[56:57]
	v_accvgpr_write_b32 a17, v227
	v_accvgpr_write_b32 a18, v228
	;; [unrolled: 1-line block ×3, first 2 shown]
	v_add_f64 v[30:31], v[186:187], -v[190:191]
	v_add_f64 v[228:229], v[176:177], v[192:193]
	v_mul_f64 v[248:249], v[32:33], s[38:39]
	v_fma_f64 v[254:255], v[12:13], s[18:19], -v[252:253]
	v_add_f64 v[52:53], v[232:233], v[52:53]
	v_add_f64 v[28:29], v[150:151], -v[182:183]
	v_accvgpr_write_b32 a126, v241          ;  Reload Reuse
	v_add_f64 v[226:227], v[184:185], v[188:189]
	v_mul_f64 v[244:245], v[30:31], s[22:23]
	v_fma_f64 v[250:251], v[228:229], s[16:17], -v[248:249]
	v_add_f64 v[52:53], v[254:255], v[52:53]
	v_add_f64 v[230:231], v[148:149], v[180:181]
	v_accvgpr_write_b32 a127, v240          ;  Reload Reuse
	v_accvgpr_write_b32 a96, v241
	v_mul_f64 v[240:241], v[28:29], s[50:51]
	v_fma_f64 v[246:247], v[226:227], s[14:15], -v[244:245]
	v_add_f64 v[52:53], v[250:251], v[52:53]
	v_accvgpr_write_b32 a2, v242
	v_accvgpr_write_b32 a98, v243
	v_fma_f64 v[242:243], v[230:231], s[10:11], -v[240:241]
	v_add_f64 v[52:53], v[246:247], v[52:53]
	v_fma_f64 v[56:57], v[2:3], s[18:19], -v[206:207]
	v_fma_f64 v[206:207], v[220:221], s[30:31], -v[238:239]
	v_add_f64 v[60:61], v[242:243], v[52:53]
	v_accvgpr_write_b32 a105, v63
	v_fma_f64 v[52:53], v[0:1], s[16:17], -v[204:205]
	v_fma_f64 v[204:205], v[222:223], s[26:27], -v[236:237]
	v_add_f64 v[206:207], v[154:155], v[206:207]
	v_accvgpr_write_b32 a104, v62
	v_accvgpr_write_b32 a103, v61
	;; [unrolled: 1-line block ×3, first 2 shown]
	v_fma_f64 v[62:63], v[10:11], s[24:25], -v[210:211]
	v_add_f64 v[204:205], v[204:205], v[206:207]
	v_fma_f64 v[60:61], v[212:213], s[20:21], -v[208:209]
	v_add_f64 v[62:63], v[62:63], v[204:205]
	v_add_f64 v[60:61], v[60:61], v[62:63]
	;; [unrolled: 1-line block ×3, first 2 shown]
	v_fma_f64 v[48:49], v[6:7], s[14:15], -v[48:49]
	v_add_f64 v[52:53], v[52:53], v[56:57]
	v_fma_f64 v[46:47], v[4:5], s[10:11], -v[46:47]
	v_add_f64 v[48:49], v[48:49], v[52:53]
	v_fmac_f64_e32 v[58:59], s[30:31], v[22:23]
	v_add_f64 v[48:49], v[46:47], v[48:49]
	v_fmac_f64_e32 v[54:55], s[26:27], v[20:21]
	;; [unrolled: 2-line block ×3, first 2 shown]
	v_add_f64 v[46:47], v[54:55], v[46:47]
	v_add_f64 v[46:47], v[234:235], v[46:47]
	v_mul_f64 v[234:235], v[26:27], s[34:35]
	v_fmac_f64_e32 v[50:51], s[20:21], v[14:15]
	s_mov_b32 s45, 0xbfefdd0d
	s_mov_b32 s44, s50
	v_mul_f64 v[210:211], v[24:25], s[38:39]
	v_fma_f64 v[236:237], s[24:25], v[220:221], v[234:235]
	v_fmac_f64_e32 v[252:253], s[18:19], v[12:13]
	v_add_f64 v[46:47], v[50:51], v[46:47]
	s_mov_b32 s57, 0x3fe9895b
	s_mov_b32 s56, s28
	v_mul_f64 v[206:207], v[16:17], s[44:45]
	v_fma_f64 v[232:233], s[16:17], v[222:223], v[210:211]
	v_add_f64 v[236:237], v[154:155], v[236:237]
	v_mul_f64 v[250:251], v[42:43], s[34:35]
	v_fmac_f64_e32 v[248:249], s[16:17], v[228:229]
	v_add_f64 v[46:47], v[252:253], v[46:47]
	s_mov_b32 s43, 0xbfd71e95
	s_mov_b32 s42, s40
	v_mul_f64 v[62:63], v[224:225], s[56:57]
	v_fma_f64 v[208:209], s[10:11], v[10:11], v[206:207]
	v_add_f64 v[232:233], v[232:233], v[236:237]
	v_mul_f64 v[246:247], v[40:41], s[38:39]
	v_fma_f64 v[252:253], v[22:23], s[24:25], -v[250:251]
	v_fmac_f64_e32 v[244:245], s[14:15], v[226:227]
	v_add_f64 v[46:47], v[248:249], v[46:47]
	v_mul_f64 v[58:59], v[218:219], s[42:43]
	v_fma_f64 v[204:205], s[18:19], v[212:213], v[62:63]
	v_add_f64 v[208:209], v[208:209], v[232:233]
	v_mul_f64 v[242:243], v[38:39], s[44:45]
	v_fma_f64 v[248:249], v[20:21], s[16:17], -v[246:247]
	v_add_f64 v[252:253], v[152:153], v[252:253]
	v_fmac_f64_e32 v[240:241], s[10:11], v[230:231]
	v_add_f64 v[46:47], v[244:245], v[46:47]
	v_mul_f64 v[54:55], v[216:217], s[36:37]
	v_fma_f64 v[60:61], s[26:27], v[2:3], v[58:59]
	v_add_f64 v[204:205], v[204:205], v[208:209]
	v_mul_f64 v[238:239], v[36:37], s[56:57]
	v_fma_f64 v[244:245], v[18:19], s[10:11], -v[242:243]
	v_add_f64 v[248:249], v[248:249], v[252:253]
	v_add_f64 v[46:47], v[240:241], v[46:47]
	v_accvgpr_write_b32 a109, v49
	v_mul_f64 v[50:51], v[8:9], s[46:47]
	v_fma_f64 v[56:57], s[30:31], v[0:1], v[54:55]
	v_add_f64 v[60:61], v[60:61], v[204:205]
	v_mul_f64 v[232:233], v[34:35], s[42:43]
	v_fma_f64 v[240:241], v[14:15], s[18:19], -v[238:239]
	v_add_f64 v[244:245], v[244:245], v[248:249]
	v_accvgpr_write_b32 a108, v48
	v_accvgpr_write_b32 a107, v47
	;; [unrolled: 1-line block ×3, first 2 shown]
	v_mul_f64 v[46:47], v[214:215], s[22:23]
	v_fma_f64 v[52:53], s[20:21], v[6:7], v[50:51]
	v_add_f64 v[56:57], v[56:57], v[60:61]
	v_mul_f64 v[204:205], v[32:33], s[36:37]
	v_fma_f64 v[236:237], v[12:13], s[26:27], -v[232:233]
	v_add_f64 v[240:241], v[240:241], v[244:245]
	v_fma_f64 v[48:49], s[14:15], v[4:5], v[46:47]
	v_add_f64 v[52:53], v[52:53], v[56:57]
	v_mul_f64 v[56:57], v[30:31], s[46:47]
	v_fma_f64 v[208:209], v[228:229], s[30:31], -v[204:205]
	v_add_f64 v[236:237], v[236:237], v[240:241]
	v_add_f64 v[66:67], v[48:49], v[52:53]
	v_mul_f64 v[48:49], v[28:29], s[22:23]
	v_fma_f64 v[60:61], v[226:227], s[20:21], -v[56:57]
	v_add_f64 v[208:209], v[208:209], v[236:237]
	v_fma_f64 v[52:53], v[230:231], s[14:15], -v[48:49]
	v_add_f64 v[60:61], v[60:61], v[208:209]
	v_add_f64 v[64:65], v[52:53], v[60:61]
	v_fma_f64 v[60:61], v[10:11], s[10:11], -v[206:207]
	v_fma_f64 v[206:207], v[220:221], s[24:25], -v[234:235]
	;; [unrolled: 1-line block ×6, first 2 shown]
	v_add_f64 v[206:207], v[154:155], v[206:207]
	v_add_f64 v[62:63], v[62:63], v[206:207]
	;; [unrolled: 1-line block ×5, first 2 shown]
	v_fma_f64 v[50:51], v[6:7], s[20:21], -v[50:51]
	v_add_f64 v[52:53], v[52:53], v[54:55]
	v_fma_f64 v[46:47], v[4:5], s[14:15], -v[46:47]
	v_add_f64 v[50:51], v[50:51], v[52:53]
	v_fmac_f64_e32 v[250:251], s[24:25], v[22:23]
	v_add_f64 v[50:51], v[46:47], v[50:51]
	v_fmac_f64_e32 v[246:247], s[16:17], v[20:21]
	;; [unrolled: 2-line block ×4, first 2 shown]
	v_add_f64 v[46:47], v[242:243], v[46:47]
	s_mov_b32 s55, 0x3feec746
	s_mov_b32 s54, s22
	v_mul_f64 v[234:235], v[26:27], s[28:29]
	v_fmac_f64_e32 v[232:233], s[26:27], v[12:13]
	v_add_f64 v[46:47], v[238:239], v[46:47]
	v_mul_f64 v[210:211], v[24:25], s[54:55]
	v_fma_f64 v[236:237], s[18:19], v[220:221], v[234:235]
	v_fmac_f64_e32 v[204:205], s[30:31], v[228:229]
	v_add_f64 v[46:47], v[232:233], v[46:47]
	v_mul_f64 v[206:207], v[16:17], s[42:43]
	v_fma_f64 v[232:233], s[14:15], v[222:223], v[210:211]
	v_add_f64 v[236:237], v[154:155], v[236:237]
	v_mul_f64 v[250:251], v[42:43], s[28:29]
	v_fmac_f64_e32 v[56:57], s[20:21], v[226:227]
	v_add_f64 v[46:47], v[204:205], v[46:47]
	v_mul_f64 v[62:63], v[224:225], s[34:35]
	v_fma_f64 v[208:209], s[26:27], v[10:11], v[206:207]
	v_add_f64 v[232:233], v[232:233], v[236:237]
	v_mul_f64 v[246:247], v[40:41], s[54:55]
	v_fma_f64 v[252:253], v[22:23], s[18:19], -v[250:251]
	v_fmac_f64_e32 v[48:49], s[14:15], v[230:231]
	v_add_f64 v[46:47], v[56:57], v[46:47]
	s_mov_b32 s49, 0xbfe58eea
	s_mov_b32 s48, s46
	v_mul_f64 v[58:59], v[218:219], s[50:51]
	v_fma_f64 v[204:205], s[24:25], v[212:213], v[62:63]
	v_add_f64 v[208:209], v[208:209], v[232:233]
	v_mul_f64 v[242:243], v[38:39], s[42:43]
	v_fma_f64 v[248:249], v[20:21], s[14:15], -v[246:247]
	v_add_f64 v[252:253], v[152:153], v[252:253]
	v_add_f64 v[48:49], v[48:49], v[46:47]
	v_accvgpr_write_b32 a117, v51
	v_mul_f64 v[54:55], v[216:217], s[48:49]
	v_fma_f64 v[60:61], s[10:11], v[2:3], v[58:59]
	v_add_f64 v[204:205], v[204:205], v[208:209]
	v_mul_f64 v[238:239], v[36:37], s[34:35]
	v_fma_f64 v[244:245], v[18:19], s[26:27], -v[242:243]
	v_add_f64 v[248:249], v[248:249], v[252:253]
	v_accvgpr_write_b32 a116, v50
	v_accvgpr_write_b32 a115, v49
	;; [unrolled: 1-line block ×3, first 2 shown]
	v_mul_f64 v[50:51], v[8:9], s[36:37]
	v_fma_f64 v[56:57], s[20:21], v[0:1], v[54:55]
	v_add_f64 v[60:61], v[60:61], v[204:205]
	v_mul_f64 v[232:233], v[34:35], s[50:51]
	v_fma_f64 v[240:241], v[14:15], s[24:25], -v[238:239]
	v_add_f64 v[244:245], v[244:245], v[248:249]
	v_mul_f64 v[46:47], v[214:215], s[38:39]
	v_fma_f64 v[52:53], s[30:31], v[6:7], v[50:51]
	v_add_f64 v[56:57], v[56:57], v[60:61]
	v_mul_f64 v[204:205], v[32:33], s[48:49]
	v_fma_f64 v[236:237], v[12:13], s[10:11], -v[232:233]
	v_add_f64 v[240:241], v[240:241], v[244:245]
	v_accvgpr_write_b32 a113, v67
	v_fma_f64 v[48:49], s[16:17], v[4:5], v[46:47]
	v_add_f64 v[52:53], v[52:53], v[56:57]
	v_mul_f64 v[56:57], v[30:31], s[36:37]
	v_fma_f64 v[208:209], v[228:229], s[20:21], -v[204:205]
	v_add_f64 v[236:237], v[236:237], v[240:241]
	v_accvgpr_write_b32 a112, v66
	v_accvgpr_write_b32 a111, v65
	;; [unrolled: 1-line block ×3, first 2 shown]
	v_add_f64 v[66:67], v[48:49], v[52:53]
	v_mul_f64 v[48:49], v[28:29], s[38:39]
	v_fma_f64 v[60:61], v[226:227], s[30:31], -v[56:57]
	v_add_f64 v[208:209], v[208:209], v[236:237]
	v_fma_f64 v[52:53], v[230:231], s[16:17], -v[48:49]
	v_add_f64 v[60:61], v[60:61], v[208:209]
	v_add_f64 v[64:65], v[52:53], v[60:61]
	v_fma_f64 v[60:61], v[10:11], s[26:27], -v[206:207]
	v_fma_f64 v[206:207], v[220:221], s[18:19], -v[234:235]
	;; [unrolled: 1-line block ×6, first 2 shown]
	v_add_f64 v[206:207], v[154:155], v[206:207]
	v_add_f64 v[62:63], v[62:63], v[206:207]
	;; [unrolled: 1-line block ×5, first 2 shown]
	v_fma_f64 v[50:51], v[6:7], s[30:31], -v[50:51]
	v_add_f64 v[52:53], v[52:53], v[54:55]
	v_fma_f64 v[46:47], v[4:5], s[16:17], -v[46:47]
	v_add_f64 v[50:51], v[50:51], v[52:53]
	v_fmac_f64_e32 v[250:251], s[18:19], v[22:23]
	v_add_f64 v[50:51], v[46:47], v[50:51]
	v_fmac_f64_e32 v[246:247], s[14:15], v[20:21]
	;; [unrolled: 2-line block ×5, first 2 shown]
	v_add_f64 v[46:47], v[238:239], v[46:47]
	s_mov_b32 s59, 0x3fe0d888
	s_mov_b32 s58, s34
	v_mul_f64 v[234:235], v[26:27], s[22:23]
	v_add_f64 v[46:47], v[232:233], v[46:47]
	v_mul_f64 v[232:233], v[24:25], s[58:59]
	v_fma_f64 v[236:237], s[14:15], v[220:221], v[234:235]
	v_fmac_f64_e32 v[204:205], s[20:21], v[228:229]
	s_mov_b32 s53, 0xbfeca52d
	s_mov_b32 s52, s38
	v_mul_f64 v[206:207], v[16:17], s[46:47]
	v_fma_f64 v[210:211], s[24:25], v[222:223], v[232:233]
	v_add_f64 v[236:237], v[154:155], v[236:237]
	v_mul_f64 v[252:253], v[42:43], s[22:23]
	v_fmac_f64_e32 v[56:57], s[30:31], v[226:227]
	v_add_f64 v[46:47], v[204:205], v[46:47]
	v_mul_f64 v[62:63], v[224:225], s[52:53]
	v_fma_f64 v[208:209], s[20:21], v[10:11], v[206:207]
	v_add_f64 v[210:211], v[210:211], v[236:237]
	v_mul_f64 v[248:249], v[40:41], s[58:59]
	v_fma_f64 v[254:255], v[22:23], s[14:15], -v[252:253]
	v_fmac_f64_e32 v[48:49], s[16:17], v[230:231]
	v_add_f64 v[46:47], v[56:57], v[46:47]
	v_mul_f64 v[58:59], v[218:219], s[36:37]
	v_fma_f64 v[204:205], s[16:17], v[212:213], v[62:63]
	v_add_f64 v[208:209], v[208:209], v[210:211]
	v_mul_f64 v[244:245], v[38:39], s[46:47]
	v_fma_f64 v[250:251], v[20:21], s[24:25], -v[248:249]
	v_add_f64 v[254:255], v[152:153], v[254:255]
	v_add_f64 v[48:49], v[48:49], v[46:47]
	v_accvgpr_write_b32 a125, v51
	v_mul_f64 v[54:55], v[216:217], s[50:51]
	v_fma_f64 v[60:61], s[30:31], v[2:3], v[58:59]
	v_add_f64 v[204:205], v[204:205], v[208:209]
	v_mul_f64 v[240:241], v[36:37], s[52:53]
	v_fma_f64 v[246:247], v[18:19], s[20:21], -v[244:245]
	v_add_f64 v[250:251], v[250:251], v[254:255]
	v_accvgpr_write_b32 a124, v50
	v_accvgpr_write_b32 a123, v49
	v_accvgpr_write_b32 a122, v48
	v_mul_f64 v[50:51], v[8:9], s[42:43]
	v_fma_f64 v[56:57], s[10:11], v[0:1], v[54:55]
	v_add_f64 v[60:61], v[60:61], v[204:205]
	v_mul_f64 v[236:237], v[34:35], s[36:37]
	v_fma_f64 v[242:243], v[14:15], s[16:17], -v[240:241]
	v_add_f64 v[246:247], v[246:247], v[250:251]
	v_mul_f64 v[46:47], v[214:215], s[28:29]
	v_fma_f64 v[52:53], s[26:27], v[6:7], v[50:51]
	v_add_f64 v[56:57], v[56:57], v[60:61]
	v_mul_f64 v[204:205], v[32:33], s[50:51]
	v_fma_f64 v[238:239], v[12:13], s[30:31], -v[236:237]
	v_add_f64 v[242:243], v[242:243], v[246:247]
	v_fma_f64 v[48:49], s[18:19], v[4:5], v[46:47]
	v_add_f64 v[52:53], v[52:53], v[56:57]
	v_mul_f64 v[56:57], v[30:31], s[42:43]
	v_fma_f64 v[208:209], v[228:229], s[10:11], -v[204:205]
	v_add_f64 v[238:239], v[238:239], v[242:243]
	v_add_f64 v[210:211], v[48:49], v[52:53]
	v_mul_f64 v[48:49], v[28:29], s[28:29]
	v_fma_f64 v[60:61], v[226:227], s[26:27], -v[56:57]
	v_add_f64 v[208:209], v[208:209], v[238:239]
	v_fma_f64 v[52:53], v[230:231], s[18:19], -v[48:49]
	v_add_f64 v[60:61], v[60:61], v[208:209]
	v_add_f64 v[208:209], v[52:53], v[60:61]
	v_fma_f64 v[60:61], v[10:11], s[20:21], -v[206:207]
	v_fma_f64 v[206:207], v[220:221], s[14:15], -v[234:235]
	;; [unrolled: 1-line block ×6, first 2 shown]
	v_add_f64 v[206:207], v[154:155], v[206:207]
	v_add_f64 v[62:63], v[62:63], v[206:207]
	;; [unrolled: 1-line block ×5, first 2 shown]
	v_fma_f64 v[50:51], v[6:7], s[26:27], -v[50:51]
	v_add_f64 v[52:53], v[52:53], v[54:55]
	v_fma_f64 v[46:47], v[4:5], s[18:19], -v[46:47]
	v_add_f64 v[50:51], v[50:51], v[52:53]
	v_fmac_f64_e32 v[252:253], s[14:15], v[22:23]
	v_add_f64 v[206:207], v[46:47], v[50:51]
	v_fmac_f64_e32 v[248:249], s[24:25], v[20:21]
	;; [unrolled: 2-line block ×4, first 2 shown]
	v_add_f64 v[46:47], v[244:245], v[46:47]
	v_mul_f64 v[242:243], v[26:27], s[44:45]
	v_add_f64 v[46:47], v[240:241], v[46:47]
	v_mul_f64 v[240:241], v[24:25], s[36:37]
	v_fma_f64 v[244:245], s[10:11], v[220:221], v[242:243]
	v_accvgpr_write_b32 a121, v67
	v_fmac_f64_e32 v[236:237], s[30:31], v[12:13]
	v_mul_f64 v[234:235], v[16:17], s[54:55]
	v_fma_f64 v[238:239], s[30:31], v[222:223], v[240:241]
	v_add_f64 v[244:245], v[154:155], v[244:245]
	v_mul_f64 v[68:69], v[42:43], s[44:45]
	v_accvgpr_write_b32 a120, v66
	v_accvgpr_write_b32 a119, v65
	;; [unrolled: 1-line block ×3, first 2 shown]
	v_add_f64 v[46:47], v[236:237], v[46:47]
	v_mul_f64 v[62:63], v[224:225], s[40:41]
	v_fma_f64 v[236:237], s[14:15], v[10:11], v[234:235]
	v_add_f64 v[238:239], v[238:239], v[244:245]
	v_mul_f64 v[64:65], v[40:41], s[36:37]
	v_fma_f64 v[70:71], v[22:23], s[10:11], -v[68:69]
	v_fmac_f64_e32 v[204:205], s[10:11], v[228:229]
	v_mul_f64 v[58:59], v[218:219], s[52:53]
	v_fma_f64 v[232:233], s[26:27], v[212:213], v[62:63]
	v_add_f64 v[236:237], v[236:237], v[238:239]
	v_mul_f64 v[252:253], v[38:39], s[54:55]
	v_fma_f64 v[66:67], v[20:21], s[30:31], -v[64:65]
	v_add_f64 v[70:71], v[152:153], v[70:71]
	v_fmac_f64_e32 v[56:57], s[26:27], v[226:227]
	v_add_f64 v[46:47], v[204:205], v[46:47]
	v_mul_f64 v[54:55], v[216:217], s[34:35]
	v_fma_f64 v[60:61], s[16:17], v[2:3], v[58:59]
	v_add_f64 v[232:233], v[232:233], v[236:237]
	v_mul_f64 v[248:249], v[36:37], s[40:41]
	v_fma_f64 v[254:255], v[18:19], s[14:15], -v[252:253]
	v_add_f64 v[66:67], v[66:67], v[70:71]
	v_fmac_f64_e32 v[48:49], s[18:19], v[230:231]
	v_add_f64 v[46:47], v[56:57], v[46:47]
	v_mul_f64 v[50:51], v[8:9], s[56:57]
	v_fma_f64 v[56:57], s[24:25], v[0:1], v[54:55]
	v_add_f64 v[60:61], v[60:61], v[232:233]
	v_mul_f64 v[244:245], v[34:35], s[52:53]
	v_fma_f64 v[250:251], v[14:15], s[26:27], -v[248:249]
	v_add_f64 v[66:67], v[254:255], v[66:67]
	v_add_f64 v[204:205], v[48:49], v[46:47]
	v_mul_f64 v[46:47], v[214:215], s[46:47]
	v_fma_f64 v[52:53], s[18:19], v[6:7], v[50:51]
	v_add_f64 v[56:57], v[56:57], v[60:61]
	v_mul_f64 v[232:233], v[32:33], s[34:35]
	v_fma_f64 v[246:247], v[12:13], s[16:17], -v[244:245]
	v_add_f64 v[66:67], v[250:251], v[66:67]
	v_fma_f64 v[48:49], s[20:21], v[4:5], v[46:47]
	v_add_f64 v[52:53], v[52:53], v[56:57]
	v_mul_f64 v[56:57], v[30:31], s[56:57]
	v_fma_f64 v[236:237], v[228:229], s[24:25], -v[232:233]
	v_add_f64 v[66:67], v[246:247], v[66:67]
	v_add_f64 v[238:239], v[48:49], v[52:53]
	v_mul_f64 v[48:49], v[28:29], s[46:47]
	v_fma_f64 v[60:61], v[226:227], s[18:19], -v[56:57]
	v_add_f64 v[66:67], v[236:237], v[66:67]
	v_fma_f64 v[52:53], v[230:231], s[20:21], -v[48:49]
	v_add_f64 v[60:61], v[60:61], v[66:67]
	;; [unrolled: 2-line block ×3, first 2 shown]
	v_fma_f64 v[52:53], v[0:1], s[24:25], -v[54:55]
	v_fma_f64 v[54:55], v[2:3], s[16:17], -v[58:59]
	v_fma_f64 v[58:59], v[212:213], s[26:27], -v[62:63]
	v_fma_f64 v[62:63], v[222:223], s[30:31], -v[240:241]
	v_add_f64 v[66:67], v[154:155], v[66:67]
	v_fma_f64 v[60:61], v[10:11], s[14:15], -v[234:235]
	v_add_f64 v[62:63], v[62:63], v[66:67]
	v_add_f64 v[60:61], v[60:61], v[62:63]
	;; [unrolled: 1-line block ×4, first 2 shown]
	v_fma_f64 v[50:51], v[6:7], s[18:19], -v[50:51]
	v_add_f64 v[52:53], v[52:53], v[54:55]
	v_fma_f64 v[46:47], v[4:5], s[20:21], -v[46:47]
	v_add_f64 v[50:51], v[50:51], v[52:53]
	v_fmac_f64_e32 v[68:69], s[10:11], v[22:23]
	v_add_f64 v[242:243], v[46:47], v[50:51]
	v_fmac_f64_e32 v[64:65], s[30:31], v[20:21]
	;; [unrolled: 2-line block ×5, first 2 shown]
	v_add_f64 v[46:47], v[248:249], v[46:47]
	v_mul_f64 v[234:235], v[26:27], s[52:53]
	v_fmac_f64_e32 v[232:233], s[24:25], v[228:229]
	v_add_f64 v[46:47], v[244:245], v[46:47]
	s_mov_b32 s51, 0x3fc7851a
	s_mov_b32 s50, s36
	v_mul_f64 v[70:71], v[24:25], s[28:29]
	v_fma_f64 v[244:245], s[16:17], v[220:221], v[234:235]
	v_add_f64 v[46:47], v[232:233], v[46:47]
	v_mul_f64 v[66:67], v[16:17], s[50:51]
	v_fma_f64 v[232:233], s[18:19], v[222:223], v[70:71]
	v_add_f64 v[244:245], v[154:155], v[244:245]
	v_mul_f64 v[76:77], v[42:43], s[52:53]
	v_mul_f64 v[62:63], v[224:225], s[54:55]
	v_fma_f64 v[68:69], s[30:31], v[10:11], v[66:67]
	v_add_f64 v[232:233], v[232:233], v[244:245]
	v_mul_f64 v[72:73], v[40:41], s[28:29]
	v_fma_f64 v[78:79], v[22:23], s[16:17], -v[76:77]
	v_mul_f64 v[58:59], v[218:219], s[46:47]
	v_fma_f64 v[64:65], s[14:15], v[212:213], v[62:63]
	v_add_f64 v[68:69], v[68:69], v[232:233]
	v_mul_f64 v[252:253], v[38:39], s[50:51]
	v_fma_f64 v[74:75], v[20:21], s[18:19], -v[72:73]
	v_add_f64 v[78:79], v[152:153], v[78:79]
	v_fmac_f64_e32 v[56:57], s[18:19], v[226:227]
	v_mul_f64 v[54:55], v[216:217], s[42:43]
	v_fma_f64 v[60:61], s[20:21], v[2:3], v[58:59]
	v_add_f64 v[64:65], v[64:65], v[68:69]
	v_mul_f64 v[248:249], v[36:37], s[54:55]
	v_fma_f64 v[254:255], v[18:19], s[30:31], -v[252:253]
	v_add_f64 v[74:75], v[74:75], v[78:79]
	v_fmac_f64_e32 v[48:49], s[20:21], v[230:231]
	v_add_f64 v[46:47], v[56:57], v[46:47]
	v_mul_f64 v[50:51], v[8:9], s[44:45]
	v_fma_f64 v[56:57], s[26:27], v[0:1], v[54:55]
	v_add_f64 v[60:61], v[60:61], v[64:65]
	v_mul_f64 v[232:233], v[34:35], s[46:47]
	v_fma_f64 v[250:251], v[14:15], s[14:15], -v[248:249]
	v_add_f64 v[74:75], v[254:255], v[74:75]
	v_add_f64 v[240:241], v[48:49], v[46:47]
	v_mul_f64 v[46:47], v[214:215], s[34:35]
	v_fma_f64 v[52:53], s[10:11], v[6:7], v[50:51]
	v_add_f64 v[56:57], v[56:57], v[60:61]
	v_mul_f64 v[64:65], v[32:33], s[42:43]
	v_fma_f64 v[244:245], v[12:13], s[20:21], -v[232:233]
	v_add_f64 v[74:75], v[250:251], v[74:75]
	v_fma_f64 v[48:49], s[24:25], v[4:5], v[46:47]
	v_add_f64 v[52:53], v[52:53], v[56:57]
	v_mul_f64 v[56:57], v[30:31], s[44:45]
	v_fma_f64 v[68:69], v[228:229], s[26:27], -v[64:65]
	v_add_f64 v[74:75], v[244:245], v[74:75]
	v_add_f64 v[246:247], v[48:49], v[52:53]
	v_mul_f64 v[48:49], v[28:29], s[34:35]
	v_fma_f64 v[60:61], v[226:227], s[10:11], -v[56:57]
	v_add_f64 v[68:69], v[68:69], v[74:75]
	v_fma_f64 v[52:53], v[230:231], s[24:25], -v[48:49]
	v_add_f64 v[60:61], v[60:61], v[68:69]
	v_add_f64 v[244:245], v[52:53], v[60:61]
	v_fma_f64 v[60:61], v[10:11], s[30:31], -v[66:67]
	v_fma_f64 v[66:67], v[220:221], s[16:17], -v[234:235]
	;; [unrolled: 1-line block ×6, first 2 shown]
	v_add_f64 v[66:67], v[154:155], v[66:67]
	v_add_f64 v[62:63], v[62:63], v[66:67]
	;; [unrolled: 1-line block ×5, first 2 shown]
	v_fma_f64 v[50:51], v[6:7], s[10:11], -v[50:51]
	v_add_f64 v[52:53], v[52:53], v[54:55]
	v_fma_f64 v[46:47], v[4:5], s[24:25], -v[46:47]
	v_add_f64 v[50:51], v[50:51], v[52:53]
	v_fmac_f64_e32 v[76:77], s[16:17], v[22:23]
	v_add_f64 v[254:255], v[46:47], v[50:51]
	v_fmac_f64_e32 v[72:73], s[18:19], v[20:21]
	;; [unrolled: 2-line block ×3, first 2 shown]
	v_add_f64 v[46:47], v[72:73], v[46:47]
	v_mul_f64 v[74:75], v[26:27], s[48:49]
	v_fmac_f64_e32 v[248:249], s[14:15], v[14:15]
	v_add_f64 v[46:47], v[252:253], v[46:47]
	v_mul_f64 v[70:71], v[24:25], s[44:45]
	v_fma_f64 v[76:77], s[20:21], v[220:221], v[74:75]
	v_fmac_f64_e32 v[232:233], s[20:21], v[12:13]
	v_add_f64 v[46:47], v[248:249], v[46:47]
	v_mul_f64 v[66:67], v[16:17], s[28:29]
	v_fma_f64 v[72:73], s[10:11], v[222:223], v[70:71]
	v_add_f64 v[76:77], v[154:155], v[76:77]
	v_accvgpr_write_b32 a44, v84
	v_accvgpr_write_b32 a45, v85
	v_mul_f64 v[84:85], v[42:43], s[48:49]
	v_fmac_f64_e32 v[64:65], s[26:27], v[228:229]
	v_add_f64 v[46:47], v[232:233], v[46:47]
	v_mul_f64 v[62:63], v[224:225], s[36:37]
	v_fma_f64 v[68:69], s[18:19], v[10:11], v[66:67]
	v_add_f64 v[72:73], v[72:73], v[76:77]
	v_mul_f64 v[80:81], v[40:41], s[44:45]
	v_accvgpr_write_b32 a46, v86
	v_accvgpr_write_b32 a47, v87
	v_fma_f64 v[86:87], v[22:23], s[20:21], -v[84:85]
	v_add_f64 v[46:47], v[64:65], v[46:47]
	v_mul_f64 v[58:59], v[218:219], s[58:59]
	v_fma_f64 v[64:65], s[30:31], v[212:213], v[62:63]
	v_add_f64 v[68:69], v[68:69], v[72:73]
	v_mul_f64 v[234:235], v[38:39], s[28:29]
	v_accvgpr_write_b32 a1, v82
	v_accvgpr_write_b32 a3, v83
	v_fma_f64 v[82:83], v[20:21], s[10:11], -v[80:81]
	v_add_f64 v[86:87], v[152:153], v[86:87]
	v_fmac_f64_e32 v[56:57], s[10:11], v[226:227]
	v_mul_f64 v[54:55], v[216:217], s[54:55]
	v_fma_f64 v[60:61], s[24:25], v[2:3], v[58:59]
	v_add_f64 v[64:65], v[64:65], v[68:69]
	v_mul_f64 v[78:79], v[36:37], s[36:37]
	v_fma_f64 v[248:249], v[18:19], s[18:19], -v[234:235]
	v_add_f64 v[82:83], v[82:83], v[86:87]
	v_fmac_f64_e32 v[48:49], s[24:25], v[230:231]
	v_add_f64 v[46:47], v[56:57], v[46:47]
	v_mul_f64 v[50:51], v[8:9], s[38:39]
	v_fma_f64 v[56:57], s[14:15], v[0:1], v[54:55]
	v_add_f64 v[60:61], v[60:61], v[64:65]
	v_mul_f64 v[72:73], v[34:35], s[58:59]
	v_fma_f64 v[232:233], v[14:15], s[30:31], -v[78:79]
	v_add_f64 v[82:83], v[248:249], v[82:83]
	v_add_f64 v[252:253], v[48:49], v[46:47]
	v_mul_f64 v[46:47], v[214:215], s[40:41]
	v_fma_f64 v[52:53], s[16:17], v[6:7], v[50:51]
	v_add_f64 v[56:57], v[56:57], v[60:61]
	v_mul_f64 v[64:65], v[32:33], s[54:55]
	v_fma_f64 v[76:77], v[12:13], s[24:25], -v[72:73]
	v_add_f64 v[82:83], v[232:233], v[82:83]
	v_fma_f64 v[48:49], s[26:27], v[4:5], v[46:47]
	v_add_f64 v[52:53], v[52:53], v[56:57]
	v_mul_f64 v[56:57], v[30:31], s[38:39]
	v_fma_f64 v[68:69], v[228:229], s[14:15], -v[64:65]
	v_add_f64 v[76:77], v[76:77], v[82:83]
	v_add_f64 v[250:251], v[48:49], v[52:53]
	v_mul_f64 v[52:53], v[28:29], s[40:41]
	v_fma_f64 v[60:61], v[226:227], s[16:17], -v[56:57]
	v_add_f64 v[68:69], v[68:69], v[76:77]
	v_fma_f64 v[48:49], v[230:231], s[26:27], -v[52:53]
	v_add_f64 v[60:61], v[60:61], v[68:69]
	v_add_f64 v[248:249], v[48:49], v[60:61]
	v_fma_f64 v[60:61], v[10:11], s[18:19], -v[66:67]
	v_fma_f64 v[66:67], v[220:221], s[20:21], -v[74:75]
	;; [unrolled: 1-line block ×7, first 2 shown]
	v_add_f64 v[66:67], v[154:155], v[66:67]
	v_add_f64 v[62:63], v[62:63], v[66:67]
	;; [unrolled: 1-line block ×6, first 2 shown]
	v_fma_f64 v[46:47], v[4:5], s[26:27], -v[46:47]
	v_add_f64 v[48:49], v[48:49], v[50:51]
	v_fmac_f64_e32 v[84:85], s[20:21], v[22:23]
	v_add_f64 v[48:49], v[46:47], v[48:49]
	v_fmac_f64_e32 v[80:81], s[10:11], v[20:21]
	;; [unrolled: 2-line block ×8, first 2 shown]
	v_add_f64 v[46:47], v[56:57], v[46:47]
	v_mul_f64 v[50:51], v[214:215], s[36:37]
	v_mul_f64 v[72:73], v[26:27], s[42:43]
	v_add_f64 v[46:47], v[52:53], v[46:47]
	v_fma_f64 v[52:53], s[30:31], v[4:5], v[50:51]
	v_mul_f64 v[16:17], v[16:17], s[52:53]
	v_mul_f64 v[70:71], v[24:25], s[48:49]
	v_fma_f64 v[4:5], v[4:5], s[30:31], -v[50:51]
	v_fma_f64 v[50:51], v[220:221], s[26:27], -v[72:73]
	v_fma_f64 v[68:69], s[16:17], v[10:11], v[16:17]
	v_fma_f64 v[10:11], v[10:11], s[16:17], -v[16:17]
	v_fma_f64 v[16:17], v[222:223], s[20:21], -v[70:71]
	v_add_f64 v[50:51], v[154:155], v[50:51]
	v_mul_f64 v[8:9], v[8:9], s[34:35]
	v_mul_f64 v[64:65], v[224:225], s[44:45]
	v_add_f64 v[16:17], v[16:17], v[50:51]
	v_fma_f64 v[54:55], s[24:25], v[6:7], v[8:9]
	v_mul_f64 v[60:61], v[218:219], s[22:23]
	v_fma_f64 v[6:7], v[6:7], s[24:25], -v[8:9]
	v_fma_f64 v[8:9], v[212:213], s[10:11], -v[64:65]
	v_add_f64 v[10:11], v[10:11], v[16:17]
	v_mul_f64 v[56:57], v[216:217], s[28:29]
	v_fma_f64 v[62:63], s[14:15], v[2:3], v[60:61]
	v_fma_f64 v[2:3], v[2:3], s[14:15], -v[60:61]
	v_add_f64 v[8:9], v[8:9], v[10:11]
	v_fma_f64 v[58:59], s[18:19], v[0:1], v[56:57]
	v_fma_f64 v[0:1], v[0:1], s[18:19], -v[56:57]
	v_add_f64 v[2:3], v[2:3], v[8:9]
	v_add_f64 v[0:1], v[0:1], v[2:3]
	;; [unrolled: 1-line block ×26, first 2 shown]
	v_fma_f64 v[26:27], s[26:27], v[220:221], v[72:73]
	v_add_f64 v[4:5], v[4:5], v[184:185]
	v_fma_f64 v[24:25], s[20:21], v[222:223], v[70:71]
	v_add_f64 v[26:27], v[154:155], v[26:27]
	v_mul_f64 v[42:43], v[42:43], s[42:43]
	v_add_f64 v[4:5], v[4:5], v[148:149]
	v_add_f64 v[24:25], v[24:25], v[26:27]
	v_mul_f64 v[40:41], v[40:41], s[48:49]
	v_fma_f64 v[74:75], v[22:23], s[26:27], -v[42:43]
	v_fmac_f64_e32 v[42:43], s[26:27], v[22:23]
	v_add_f64 v[4:5], v[4:5], v[180:181]
	v_fma_f64 v[66:67], s[10:11], v[212:213], v[64:65]
	v_add_f64 v[24:25], v[68:69], v[24:25]
	v_mul_f64 v[38:39], v[38:39], s[52:53]
	v_fma_f64 v[68:69], v[20:21], s[20:21], -v[40:41]
	v_fmac_f64_e32 v[40:41], s[20:21], v[20:21]
	v_add_f64 v[0:1], v[152:153], v[42:43]
	v_add_f64 v[4:5], v[4:5], v[188:189]
	;; [unrolled: 1-line block ×3, first 2 shown]
	v_mul_f64 v[36:37], v[36:37], s[44:45]
	v_fma_f64 v[66:67], v[18:19], s[16:17], -v[38:39]
	v_fmac_f64_e32 v[38:39], s[16:17], v[18:19]
	v_add_f64 v[0:1], v[40:41], v[0:1]
	v_add_f64 v[4:5], v[4:5], v[192:193]
	;; [unrolled: 1-line block ×3, first 2 shown]
	v_mul_f64 v[34:35], v[34:35], s[22:23]
	v_fma_f64 v[62:63], v[14:15], s[10:11], -v[36:37]
	v_add_f64 v[74:75], v[152:153], v[74:75]
	v_fmac_f64_e32 v[36:37], s[10:11], v[14:15]
	v_add_f64 v[0:1], v[38:39], v[0:1]
	v_add_f64 v[4:5], v[4:5], v[200:201]
	;; [unrolled: 1-line block ×3, first 2 shown]
	v_mul_f64 v[32:33], v[32:33], s[28:29]
	v_fma_f64 v[58:59], v[12:13], s[14:15], -v[34:35]
	v_add_f64 v[68:69], v[68:69], v[74:75]
	v_fmac_f64_e32 v[34:35], s[14:15], v[12:13]
	v_add_f64 v[0:1], v[36:37], v[0:1]
	v_add_f64 v[4:5], v[4:5], v[164:165]
	v_accvgpr_read_b32 v9, a126             ;  Reload Reuse
	v_add_f64 v[24:25], v[54:55], v[24:25]
	v_mul_f64 v[30:31], v[30:31], s[34:35]
	v_fma_f64 v[54:55], v[228:229], s[18:19], -v[32:33]
	v_add_f64 v[66:67], v[66:67], v[68:69]
	v_fmac_f64_e32 v[32:33], s[18:19], v[228:229]
	v_add_f64 v[0:1], v[34:35], v[0:1]
	v_add_f64 v[4:5], v[4:5], v[196:197]
	v_accvgpr_read_b32 v8, a127             ;  Reload Reuse
	v_add_f64 v[26:27], v[52:53], v[24:25]
	v_mul_f64 v[28:29], v[28:29], s[36:37]
	v_fma_f64 v[52:53], v[226:227], s[24:25], -v[30:31]
	v_add_f64 v[62:63], v[62:63], v[66:67]
	v_fmac_f64_e32 v[30:31], s[24:25], v[226:227]
	v_add_f64 v[0:1], v[32:33], v[0:1]
	v_add_f64 v[4:5], v[4:5], v[88:89]
	v_mul_lo_u16_e32 v8, 17, v8
	v_accvgpr_read_b32 v9, a101
	v_fma_f64 v[24:25], v[230:231], s[30:31], -v[28:29]
	v_add_f64 v[58:59], v[58:59], v[62:63]
	v_fmac_f64_e32 v[28:29], s[30:31], v[230:231]
	v_add_f64 v[0:1], v[30:31], v[0:1]
	v_add_f64 v[4:5], v[4:5], v[92:93]
	v_lshl_add_u32 v8, v8, 4, v9
	v_accvgpr_read_b32 v217, a7
	v_add_f64 v[54:55], v[54:55], v[58:59]
	v_accvgpr_read_b32 v225, a15
	v_accvgpr_read_b32 v221, a11
	;; [unrolled: 1-line block ×4, first 2 shown]
	v_add_f64 v[0:1], v[28:29], v[0:1]
	v_accvgpr_read_b32 v91, a51
	v_accvgpr_read_b32 v95, a55
	ds_write_b128 v8, v[4:7]
	ds_write_b128 v8, v[0:3] offset:16
	ds_write_b128 v8, v[46:49] offset:32
	;; [unrolled: 1-line block ×3, first 2 shown]
	v_accvgpr_read_b32 v255, a31
	ds_write_b128 v8, v[240:243] offset:64
	v_accvgpr_read_b32 v241, a126           ;  Reload Reuse
	ds_write_b128 v8, v[204:207] offset:80
	ds_write_b128 v8, a[122:125] offset:96
	ds_write_b128 v8, a[114:117] offset:112
	ds_write_b128 v8, a[106:109] offset:128
	ds_write_b128 v8, a[102:105] offset:144
	ds_write_b128 v8, a[110:113] offset:160
	ds_write_b128 v8, a[118:121] offset:176
	ds_write_b128 v8, v[208:211] offset:192
	ds_write_b128 v8, v[236:239] offset:208
	v_accvgpr_read_b32 v237, a27
	v_accvgpr_read_b32 v87, a47
	;; [unrolled: 1-line block ×10, first 2 shown]
	v_add_f64 v[52:53], v[52:53], v[54:55]
	v_accvgpr_read_b32 v212, a97
	v_accvgpr_read_b32 v224, a14
	;; [unrolled: 1-line block ×24, first 2 shown]
	v_accvgpr_read_b32 v240, a127           ;  Reload Reuse
	v_accvgpr_read_b32 v241, a96
	v_accvgpr_read_b32 v205, a100
	;; [unrolled: 1-line block ×7, first 2 shown]
	v_add_f64 v[24:25], v[24:25], v[52:53]
	ds_write_b128 v8, v[244:247] offset:224
	ds_write_b128 v8, v[248:251] offset:240
	;; [unrolled: 1-line block ×3, first 2 shown]
.LBB0_13:
	s_or_b64 exec, exec, s[0:1]
	s_waitcnt lgkmcnt(0)
	s_barrier
	ds_read_b128 v[0:3], v44
	ds_read_b128 v[4:7], v44 offset:1360
	ds_read_b128 v[8:11], v44 offset:13600
	;; [unrolled: 1-line block ×14, first 2 shown]
	s_waitcnt lgkmcnt(4)
	v_mul_f64 v[50:51], v[220:221], v[34:35]
	v_fmac_f64_e32 v[50:51], v[218:219], v[32:33]
	v_mul_f64 v[32:33], v[220:221], v[32:33]
	v_fma_f64 v[32:33], v[218:219], v[34:35], -v[32:33]
	v_mul_f64 v[34:35], v[216:217], v[10:11]
	v_fmac_f64_e32 v[34:35], v[214:215], v[8:9]
	v_mul_f64 v[8:9], v[216:217], v[8:9]
	v_fma_f64 v[52:53], v[214:215], v[10:11], -v[8:9]
	v_mul_f64 v[8:9], v[228:229], v[16:17]
	v_fma_f64 v[56:57], v[226:227], v[18:19], -v[8:9]
	v_mul_f64 v[58:59], v[224:225], v[14:15]
	v_mul_f64 v[8:9], v[224:225], v[12:13]
	v_fmac_f64_e32 v[58:59], v[222:223], v[12:13]
	v_fma_f64 v[60:61], v[222:223], v[14:15], -v[8:9]
	v_mul_f64 v[8:9], v[236:237], v[20:21]
	v_accvgpr_read_b32 v10, a32
	v_fma_f64 v[64:65], v[234:235], v[22:23], -v[8:9]
	v_mul_f64 v[8:9], v[232:233], v[24:25]
	v_accvgpr_read_b32 v12, a34
	v_accvgpr_read_b32 v13, a35
	v_fma_f64 v[68:69], v[230:231], v[26:27], -v[8:9]
	v_accvgpr_read_b32 v11, a33
	s_waitcnt lgkmcnt(2)
	v_mul_f64 v[70:71], v[12:13], v[38:39]
	v_mul_f64 v[8:9], v[12:13], v[36:37]
	v_fmac_f64_e32 v[70:71], v[10:11], v[36:37]
	v_fma_f64 v[38:39], v[10:11], v[38:39], -v[8:9]
	v_accvgpr_read_b32 v10, a40
	v_mul_f64 v[8:9], v[254:255], v[28:29]
	v_accvgpr_read_b32 v12, a42
	v_accvgpr_read_b32 v13, a43
	v_fma_f64 v[74:75], v[252:253], v[30:31], -v[8:9]
	v_accvgpr_read_b32 v11, a41
	s_waitcnt lgkmcnt(1)
	v_mul_f64 v[76:77], v[12:13], v[42:43]
	v_mul_f64 v[8:9], v[12:13], v[40:41]
	v_fmac_f64_e32 v[76:77], v[10:11], v[40:41]
	v_fma_f64 v[78:79], v[10:11], v[42:43], -v[8:9]
	v_accvgpr_read_b32 v10, a36
	v_accvgpr_read_b32 v12, a38
	;; [unrolled: 1-line block ×4, first 2 shown]
	s_waitcnt lgkmcnt(0)
	v_mul_f64 v[80:81], v[12:13], v[48:49]
	v_mul_f64 v[8:9], v[12:13], v[46:47]
	;; [unrolled: 1-line block ×3, first 2 shown]
	v_fmac_f64_e32 v[80:81], v[10:11], v[46:47]
	v_fma_f64 v[48:49], v[10:11], v[48:49], -v[8:9]
	v_add_f64 v[10:11], v[50:51], v[34:35]
	s_mov_b32 s0, 0xe8584caa
	v_fmac_f64_e32 v[54:55], v[226:227], v[16:17]
	v_add_f64 v[8:9], v[0:1], v[50:51]
	v_fmac_f64_e32 v[0:1], -0.5, v[10:11]
	v_add_f64 v[10:11], v[32:33], -v[52:53]
	s_mov_b32 s1, 0xbfebb67a
	s_mov_b32 s11, 0x3febb67a
	;; [unrolled: 1-line block ×3, first 2 shown]
	v_add_f64 v[14:15], v[32:33], v[52:53]
	v_mul_f64 v[62:63], v[236:237], v[22:23]
	v_mul_f64 v[66:67], v[232:233], v[26:27]
	v_fma_f64 v[12:13], s[0:1], v[10:11], v[0:1]
	v_fmac_f64_e32 v[0:1], s[10:11], v[10:11]
	v_add_f64 v[10:11], v[2:3], v[32:33]
	v_fmac_f64_e32 v[2:3], -0.5, v[14:15]
	v_add_f64 v[16:17], v[50:51], -v[34:35]
	v_add_f64 v[18:19], v[54:55], v[58:59]
	v_fmac_f64_e32 v[62:63], v[234:235], v[20:21]
	v_fmac_f64_e32 v[66:67], v[230:231], v[24:25]
	v_fma_f64 v[14:15], s[10:11], v[16:17], v[2:3]
	v_fmac_f64_e32 v[2:3], s[0:1], v[16:17]
	v_add_f64 v[16:17], v[4:5], v[54:55]
	v_fmac_f64_e32 v[4:5], -0.5, v[18:19]
	v_add_f64 v[18:19], v[56:57], -v[60:61]
	v_add_f64 v[22:23], v[56:57], v[60:61]
	v_mul_f64 v[72:73], v[254:255], v[30:31]
	v_fma_f64 v[20:21], s[0:1], v[18:19], v[4:5]
	v_fmac_f64_e32 v[4:5], s[10:11], v[18:19]
	v_add_f64 v[18:19], v[6:7], v[56:57]
	v_fmac_f64_e32 v[6:7], -0.5, v[22:23]
	v_add_f64 v[24:25], v[54:55], -v[58:59]
	v_add_f64 v[26:27], v[62:63], v[66:67]
	v_fmac_f64_e32 v[72:73], v[252:253], v[28:29]
	v_fma_f64 v[22:23], s[10:11], v[24:25], v[6:7]
	v_fmac_f64_e32 v[6:7], s[0:1], v[24:25]
	v_add_f64 v[24:25], v[144:145], v[62:63]
	v_fmac_f64_e32 v[144:145], -0.5, v[26:27]
	v_add_f64 v[26:27], v[64:65], -v[68:69]
	v_add_f64 v[30:31], v[64:65], v[68:69]
	v_add_f64 v[8:9], v[8:9], v[34:35]
	v_fma_f64 v[28:29], s[0:1], v[26:27], v[144:145]
	v_fmac_f64_e32 v[144:145], s[10:11], v[26:27]
	v_add_f64 v[26:27], v[146:147], v[64:65]
	v_fmac_f64_e32 v[146:147], -0.5, v[30:31]
	v_add_f64 v[32:33], v[62:63], -v[66:67]
	v_add_f64 v[34:35], v[70:71], v[72:73]
	v_fma_f64 v[30:31], s[10:11], v[32:33], v[146:147]
	v_fmac_f64_e32 v[146:147], s[0:1], v[32:33]
	v_add_f64 v[32:33], v[148:149], v[70:71]
	v_fmac_f64_e32 v[148:149], -0.5, v[34:35]
	v_add_f64 v[34:35], v[38:39], -v[74:75]
	v_fma_f64 v[36:37], s[0:1], v[34:35], v[148:149]
	v_fmac_f64_e32 v[148:149], s[10:11], v[34:35]
	v_add_f64 v[34:35], v[150:151], v[38:39]
	v_add_f64 v[38:39], v[38:39], v[74:75]
	v_fmac_f64_e32 v[150:151], -0.5, v[38:39]
	v_add_f64 v[40:41], v[70:71], -v[72:73]
	v_add_f64 v[42:43], v[76:77], v[80:81]
	v_fma_f64 v[38:39], s[10:11], v[40:41], v[150:151]
	v_fmac_f64_e32 v[150:151], s[0:1], v[40:41]
	v_add_f64 v[40:41], v[152:153], v[76:77]
	v_fmac_f64_e32 v[152:153], -0.5, v[42:43]
	v_add_f64 v[42:43], v[78:79], -v[48:49]
	v_fma_f64 v[46:47], s[0:1], v[42:43], v[152:153]
	v_fmac_f64_e32 v[152:153], s[10:11], v[42:43]
	v_add_f64 v[42:43], v[154:155], v[78:79]
	v_add_f64 v[42:43], v[42:43], v[48:49]
	;; [unrolled: 1-line block ×4, first 2 shown]
	v_fmac_f64_e32 v[154:155], -0.5, v[48:49]
	v_add_f64 v[50:51], v[76:77], -v[80:81]
	v_accvgpr_read_b32 v52, a60
	v_add_f64 v[16:17], v[16:17], v[58:59]
	v_add_f64 v[18:19], v[18:19], v[60:61]
	;; [unrolled: 1-line block ×7, first 2 shown]
	v_fma_f64 v[48:49], s[10:11], v[50:51], v[154:155]
	v_fmac_f64_e32 v[154:155], s[0:1], v[50:51]
	v_accvgpr_read_b32 v54, a62
	v_accvgpr_read_b32 v55, a63
	s_barrier
	ds_write_b128 v82, v[8:11]
	ds_write_b128 v82, v[12:15] offset:272
	ds_write_b128 v82, v[0:3] offset:544
	ds_write_b128 v83, v[16:19]
	ds_write_b128 v83, v[20:23] offset:272
	ds_write_b128 v83, v[4:7] offset:544
	;; [unrolled: 3-line block ×5, first 2 shown]
	s_waitcnt lgkmcnt(0)
	s_barrier
	ds_read_b128 v[0:3], v44
	ds_read_b128 v[4:7], v44 offset:1360
	ds_read_b128 v[12:15], v44 offset:8160
	;; [unrolled: 1-line block ×14, first 2 shown]
	v_accvgpr_read_b32 v53, a61
	s_waitcnt lgkmcnt(8)
	v_mul_f64 v[50:51], v[54:55], v[30:31]
	v_fmac_f64_e32 v[50:51], v[52:53], v[28:29]
	v_mul_f64 v[28:29], v[54:55], v[28:29]
	v_fma_f64 v[52:53], v[52:53], v[30:31], -v[28:29]
	v_accvgpr_read_b32 v28, a56
	v_accvgpr_read_b32 v30, a58
	;; [unrolled: 1-line block ×4, first 2 shown]
	v_mul_f64 v[54:55], v[30:31], v[14:15]
	v_fmac_f64_e32 v[54:55], v[28:29], v[12:13]
	v_mul_f64 v[12:13], v[30:31], v[12:13]
	v_fma_f64 v[56:57], v[28:29], v[14:15], -v[12:13]
	s_waitcnt lgkmcnt(4)
	v_mul_f64 v[58:59], v[94:95], v[48:49]
	v_mul_f64 v[12:13], v[94:95], v[46:47]
	v_fmac_f64_e32 v[58:59], v[92:93], v[46:47]
	v_fma_f64 v[46:47], v[92:93], v[48:49], -v[12:13]
	v_mul_f64 v[48:49], v[90:91], v[22:23]
	v_mul_f64 v[12:13], v[90:91], v[20:21]
	v_fmac_f64_e32 v[48:49], v[88:89], v[20:21]
	v_fma_f64 v[60:61], v[88:89], v[22:23], -v[12:13]
	v_accvgpr_read_b32 v20, a76
	v_accvgpr_read_b32 v22, a78
	;; [unrolled: 1-line block ×4, first 2 shown]
	v_mul_f64 v[62:63], v[22:23], v[34:35]
	v_mul_f64 v[12:13], v[22:23], v[32:33]
	v_fmac_f64_e32 v[62:63], v[20:21], v[32:33]
	v_fma_f64 v[64:65], v[20:21], v[34:35], -v[12:13]
	v_accvgpr_read_b32 v20, a72
	v_accvgpr_read_b32 v22, a74
	v_accvgpr_read_b32 v23, a75
	v_accvgpr_read_b32 v21, a73
	v_mul_f64 v[66:67], v[22:23], v[18:19]
	v_fmac_f64_e32 v[66:67], v[20:21], v[16:17]
	v_mul_f64 v[12:13], v[22:23], v[16:17]
	v_accvgpr_read_b32 v14, a68
	v_accvgpr_read_b32 v16, a70
	;; [unrolled: 1-line block ×3, first 2 shown]
	v_fma_f64 v[68:69], v[20:21], v[18:19], -v[12:13]
	v_accvgpr_read_b32 v15, a69
	s_waitcnt lgkmcnt(2)
	v_mul_f64 v[70:71], v[16:17], v[150:151]
	v_mul_f64 v[12:13], v[16:17], v[148:149]
	v_fmac_f64_e32 v[70:71], v[14:15], v[148:149]
	v_fma_f64 v[72:73], v[14:15], v[150:151], -v[12:13]
	v_accvgpr_read_b32 v14, a64
	v_accvgpr_read_b32 v16, a66
	v_accvgpr_read_b32 v17, a67
	v_accvgpr_read_b32 v15, a65
	v_mul_f64 v[74:75], v[16:17], v[26:27]
	v_mul_f64 v[12:13], v[16:17], v[24:25]
	v_fmac_f64_e32 v[74:75], v[14:15], v[24:25]
	v_fma_f64 v[76:77], v[14:15], v[26:27], -v[12:13]
	v_accvgpr_read_b32 v14, a92
	v_accvgpr_read_b32 v16, a94
	v_accvgpr_read_b32 v17, a95
	v_accvgpr_read_b32 v15, a93
	;; [unrolled: 8-line block ×4, first 2 shown]
	s_waitcnt lgkmcnt(1)
	v_mul_f64 v[40:41], v[16:17], v[154:155]
	v_mul_f64 v[12:13], v[16:17], v[152:153]
	v_fmac_f64_e32 v[40:41], v[14:15], v[152:153]
	v_fma_f64 v[32:33], v[14:15], v[154:155], -v[12:13]
	v_accvgpr_read_b32 v14, a80
	v_accvgpr_read_b32 v16, a82
	;; [unrolled: 1-line block ×4, first 2 shown]
	s_waitcnt lgkmcnt(0)
	v_mul_f64 v[12:13], v[16:17], v[156:157]
	v_fma_f64 v[34:35], v[14:15], v[158:159], -v[12:13]
	v_add_f64 v[12:13], v[0:1], v[50:51]
	v_add_f64 v[12:13], v[12:13], v[54:55]
	;; [unrolled: 1-line block ×3, first 2 shown]
	v_mul_f64 v[42:43], v[16:17], v[158:159]
	v_add_f64 v[16:17], v[12:13], v[48:49]
	v_add_f64 v[12:13], v[54:55], v[58:59]
	s_mov_b32 s10, 0x134454ff
	v_fmac_f64_e32 v[42:43], v[14:15], v[156:157]
	v_fma_f64 v[12:13], -0.5, v[12:13], v[0:1]
	v_add_f64 v[14:15], v[52:53], -v[60:61]
	s_mov_b32 s11, 0xbfee6f0e
	s_mov_b32 s0, 0x4755a5e
	s_mov_b32 s17, 0x3fee6f0e
	s_mov_b32 s16, s10
	v_fma_f64 v[20:21], s[10:11], v[14:15], v[12:13]
	v_add_f64 v[18:19], v[56:57], -v[46:47]
	s_mov_b32 s1, 0xbfe2cf23
	v_add_f64 v[22:23], v[50:51], -v[54:55]
	v_add_f64 v[24:25], v[48:49], -v[58:59]
	s_mov_b32 s14, 0x372fe950
	v_fmac_f64_e32 v[12:13], s[16:17], v[14:15]
	s_mov_b32 s19, 0x3fe2cf23
	s_mov_b32 s18, s0
	v_fmac_f64_e32 v[20:21], s[0:1], v[18:19]
	v_add_f64 v[22:23], v[22:23], v[24:25]
	s_mov_b32 s15, 0x3fd3c6ef
	v_fmac_f64_e32 v[12:13], s[18:19], v[18:19]
	v_fmac_f64_e32 v[20:21], s[14:15], v[22:23]
	;; [unrolled: 1-line block ×3, first 2 shown]
	v_add_f64 v[22:23], v[50:51], v[48:49]
	v_fmac_f64_e32 v[0:1], -0.5, v[22:23]
	v_fma_f64 v[24:25], s[16:17], v[18:19], v[0:1]
	v_fmac_f64_e32 v[0:1], s[10:11], v[18:19]
	v_fmac_f64_e32 v[24:25], s[0:1], v[14:15]
	;; [unrolled: 1-line block ×3, first 2 shown]
	v_add_f64 v[14:15], v[2:3], v[52:53]
	v_add_f64 v[14:15], v[14:15], v[56:57]
	;; [unrolled: 1-line block ×3, first 2 shown]
	v_add_f64 v[22:23], v[54:55], -v[50:51]
	v_add_f64 v[26:27], v[58:59], -v[48:49]
	v_add_f64 v[18:19], v[14:15], v[60:61]
	v_add_f64 v[14:15], v[56:57], v[46:47]
	;; [unrolled: 1-line block ×3, first 2 shown]
	v_fma_f64 v[14:15], -0.5, v[14:15], v[2:3]
	v_add_f64 v[48:49], v[50:51], -v[48:49]
	v_fmac_f64_e32 v[24:25], s[14:15], v[22:23]
	v_fmac_f64_e32 v[0:1], s[14:15], v[22:23]
	v_fma_f64 v[22:23], s[16:17], v[48:49], v[14:15]
	v_add_f64 v[50:51], v[54:55], -v[58:59]
	v_add_f64 v[26:27], v[52:53], -v[56:57]
	;; [unrolled: 1-line block ×3, first 2 shown]
	v_fmac_f64_e32 v[14:15], s[10:11], v[48:49]
	v_fmac_f64_e32 v[22:23], s[18:19], v[50:51]
	v_add_f64 v[26:27], v[26:27], v[54:55]
	v_fmac_f64_e32 v[14:15], s[0:1], v[50:51]
	v_fmac_f64_e32 v[22:23], s[14:15], v[26:27]
	;; [unrolled: 1-line block ×3, first 2 shown]
	v_add_f64 v[26:27], v[52:53], v[60:61]
	v_fmac_f64_e32 v[2:3], -0.5, v[26:27]
	v_fma_f64 v[26:27], s[10:11], v[50:51], v[2:3]
	v_fmac_f64_e32 v[2:3], s[16:17], v[50:51]
	v_fmac_f64_e32 v[26:27], s[18:19], v[48:49]
	v_add_f64 v[52:53], v[56:57], -v[52:53]
	v_add_f64 v[46:47], v[46:47], -v[60:61]
	v_fmac_f64_e32 v[2:3], s[0:1], v[48:49]
	v_add_f64 v[48:49], v[66:67], v[70:71]
	v_add_f64 v[46:47], v[52:53], v[46:47]
	v_fma_f64 v[52:53], -0.5, v[48:49], v[4:5]
	v_add_f64 v[48:49], v[64:65], -v[76:77]
	v_fma_f64 v[56:57], s[10:11], v[48:49], v[52:53]
	v_add_f64 v[50:51], v[68:69], -v[72:73]
	v_add_f64 v[54:55], v[62:63], -v[66:67]
	;; [unrolled: 1-line block ×3, first 2 shown]
	v_fmac_f64_e32 v[52:53], s[16:17], v[48:49]
	v_fmac_f64_e32 v[56:57], s[0:1], v[50:51]
	v_add_f64 v[54:55], v[54:55], v[58:59]
	v_fmac_f64_e32 v[52:53], s[18:19], v[50:51]
	v_fmac_f64_e32 v[56:57], s[14:15], v[54:55]
	;; [unrolled: 1-line block ×3, first 2 shown]
	v_add_f64 v[54:55], v[62:63], v[74:75]
	v_fmac_f64_e32 v[26:27], s[14:15], v[46:47]
	v_fmac_f64_e32 v[2:3], s[14:15], v[46:47]
	v_add_f64 v[46:47], v[4:5], v[62:63]
	v_fmac_f64_e32 v[4:5], -0.5, v[54:55]
	v_fma_f64 v[60:61], s[16:17], v[50:51], v[4:5]
	v_add_f64 v[54:55], v[66:67], -v[62:63]
	v_add_f64 v[58:59], v[70:71], -v[74:75]
	v_fmac_f64_e32 v[4:5], s[10:11], v[50:51]
	v_fmac_f64_e32 v[60:61], s[0:1], v[48:49]
	v_add_f64 v[54:55], v[54:55], v[58:59]
	v_fmac_f64_e32 v[4:5], s[18:19], v[48:49]
	v_add_f64 v[50:51], v[68:69], v[72:73]
	v_add_f64 v[46:47], v[46:47], v[66:67]
	v_fmac_f64_e32 v[60:61], s[14:15], v[54:55]
	v_fmac_f64_e32 v[4:5], s[14:15], v[54:55]
	v_fma_f64 v[54:55], -0.5, v[50:51], v[6:7]
	v_add_f64 v[50:51], v[62:63], -v[74:75]
	v_add_f64 v[46:47], v[46:47], v[70:71]
	v_fma_f64 v[58:59], s[16:17], v[50:51], v[54:55]
	v_add_f64 v[66:67], v[66:67], -v[70:71]
	v_add_f64 v[62:63], v[64:65], -v[68:69]
	;; [unrolled: 1-line block ×3, first 2 shown]
	v_fmac_f64_e32 v[54:55], s[10:11], v[50:51]
	v_fmac_f64_e32 v[58:59], s[18:19], v[66:67]
	v_add_f64 v[62:63], v[62:63], v[70:71]
	v_fmac_f64_e32 v[54:55], s[0:1], v[66:67]
	v_fmac_f64_e32 v[58:59], s[14:15], v[62:63]
	;; [unrolled: 1-line block ×3, first 2 shown]
	v_add_f64 v[62:63], v[64:65], v[76:77]
	v_add_f64 v[48:49], v[6:7], v[64:65]
	v_fmac_f64_e32 v[6:7], -0.5, v[62:63]
	v_fma_f64 v[62:63], s[10:11], v[66:67], v[6:7]
	v_fmac_f64_e32 v[6:7], s[16:17], v[66:67]
	v_fmac_f64_e32 v[62:63], s[18:19], v[50:51]
	;; [unrolled: 1-line block ×3, first 2 shown]
	v_add_f64 v[50:51], v[8:9], v[36:37]
	v_add_f64 v[48:49], v[48:49], v[68:69]
	v_add_f64 v[64:65], v[68:69], -v[64:65]
	v_add_f64 v[68:69], v[72:73], -v[76:77]
	v_add_f64 v[50:51], v[50:51], v[38:39]
	v_add_f64 v[64:65], v[64:65], v[68:69]
	;; [unrolled: 1-line block ×3, first 2 shown]
	v_fmac_f64_e32 v[62:63], s[14:15], v[64:65]
	v_fmac_f64_e32 v[6:7], s[14:15], v[64:65]
	v_add_f64 v[64:65], v[50:51], v[42:43]
	v_add_f64 v[50:51], v[38:39], v[40:41]
	v_fma_f64 v[68:69], -0.5, v[50:51], v[8:9]
	v_add_f64 v[50:51], v[28:29], -v[34:35]
	v_add_f64 v[46:47], v[46:47], v[74:75]
	v_add_f64 v[48:49], v[48:49], v[72:73]
	v_fma_f64 v[72:73], s[10:11], v[50:51], v[68:69]
	v_add_f64 v[66:67], v[30:31], -v[32:33]
	v_add_f64 v[70:71], v[36:37], -v[38:39]
	v_add_f64 v[74:75], v[42:43], -v[40:41]
	v_fmac_f64_e32 v[68:69], s[16:17], v[50:51]
	v_fmac_f64_e32 v[72:73], s[0:1], v[66:67]
	v_add_f64 v[70:71], v[70:71], v[74:75]
	v_fmac_f64_e32 v[68:69], s[18:19], v[66:67]
	v_fmac_f64_e32 v[72:73], s[14:15], v[70:71]
	;; [unrolled: 1-line block ×3, first 2 shown]
	v_add_f64 v[70:71], v[36:37], v[42:43]
	v_fmac_f64_e32 v[8:9], -0.5, v[70:71]
	v_add_f64 v[48:49], v[48:49], v[76:77]
	v_fma_f64 v[76:77], s[16:17], v[66:67], v[8:9]
	v_fmac_f64_e32 v[8:9], s[10:11], v[66:67]
	v_fmac_f64_e32 v[76:77], s[0:1], v[50:51]
	;; [unrolled: 1-line block ×3, first 2 shown]
	v_add_f64 v[50:51], v[10:11], v[28:29]
	v_add_f64 v[50:51], v[50:51], v[30:31]
	v_add_f64 v[70:71], v[38:39], -v[36:37]
	v_add_f64 v[74:75], v[40:41], -v[42:43]
	v_add_f64 v[50:51], v[50:51], v[32:33]
	v_add_f64 v[70:71], v[70:71], v[74:75]
	;; [unrolled: 1-line block ×4, first 2 shown]
	v_fmac_f64_e32 v[76:77], s[14:15], v[70:71]
	v_fmac_f64_e32 v[8:9], s[14:15], v[70:71]
	v_fma_f64 v[70:71], -0.5, v[50:51], v[10:11]
	v_add_f64 v[36:37], v[36:37], -v[42:43]
	v_fma_f64 v[74:75], s[16:17], v[36:37], v[70:71]
	v_add_f64 v[38:39], v[38:39], -v[40:41]
	v_add_f64 v[40:41], v[28:29], -v[30:31]
	;; [unrolled: 1-line block ×3, first 2 shown]
	v_fmac_f64_e32 v[70:71], s[10:11], v[36:37]
	v_fmac_f64_e32 v[74:75], s[18:19], v[38:39]
	v_add_f64 v[40:41], v[40:41], v[42:43]
	v_fmac_f64_e32 v[70:71], s[0:1], v[38:39]
	v_fmac_f64_e32 v[74:75], s[14:15], v[40:41]
	;; [unrolled: 1-line block ×3, first 2 shown]
	v_add_f64 v[40:41], v[28:29], v[34:35]
	v_fmac_f64_e32 v[10:11], -0.5, v[40:41]
	v_fma_f64 v[78:79], s[10:11], v[38:39], v[10:11]
	v_add_f64 v[28:29], v[30:31], -v[28:29]
	v_add_f64 v[30:31], v[32:33], -v[34:35]
	v_fmac_f64_e32 v[10:11], s[16:17], v[38:39]
	v_add_f64 v[28:29], v[28:29], v[30:31]
	v_fmac_f64_e32 v[10:11], s[0:1], v[36:37]
	v_fmac_f64_e32 v[78:79], s[18:19], v[36:37]
	;; [unrolled: 1-line block ×4, first 2 shown]
	s_barrier
	ds_write_b128 v87, v[16:19]
	ds_write_b128 v87, v[20:23] offset:816
	ds_write_b128 v87, v[24:27] offset:1632
	ds_write_b128 v87, v[0:3] offset:2448
	ds_write_b128 v87, v[12:15] offset:3264
	ds_write_b128 v241, v[46:49]
	ds_write_b128 v241, v[56:59] offset:816
	ds_write_b128 v241, v[60:63] offset:1632
	ds_write_b128 v241, v[4:7] offset:2448
	ds_write_b128 v241, v[52:55] offset:3264
	;; [unrolled: 5-line block ×3, first 2 shown]
	s_waitcnt lgkmcnt(0)
	s_barrier
	ds_read_b128 v[0:3], v44
	ds_read_b128 v[4:7], v44 offset:1360
	ds_read_b128 v[12:15], v44 offset:8160
	;; [unrolled: 1-line block ×14, first 2 shown]
	s_waitcnt lgkmcnt(12)
	v_mul_f64 v[70:71], v[106:107], v[14:15]
	v_fmac_f64_e32 v[70:71], v[104:105], v[12:13]
	v_mul_f64 v[12:13], v[106:107], v[12:13]
	v_fma_f64 v[72:73], v[104:105], v[14:15], -v[12:13]
	s_waitcnt lgkmcnt(4)
	v_mul_f64 v[74:75], v[102:103], v[48:49]
	v_mul_f64 v[12:13], v[102:103], v[46:47]
	v_fmac_f64_e32 v[74:75], v[100:101], v[46:47]
	v_fma_f64 v[46:47], v[100:101], v[48:49], -v[12:13]
	v_mul_f64 v[12:13], v[98:99], v[20:21]
	v_fma_f64 v[76:77], v[96:97], v[22:23], -v[12:13]
	v_mul_f64 v[12:13], v[126:127], v[32:33]
	;; [unrolled: 2-line block ×3, first 2 shown]
	v_fma_f64 v[84:85], v[120:121], v[18:19], -v[12:13]
	s_waitcnt lgkmcnt(2)
	v_mul_f64 v[12:13], v[118:119], v[56:57]
	v_mul_f64 v[50:51], v[110:111], v[30:31]
	v_fma_f64 v[88:89], v[116:117], v[58:59], -v[12:13]
	v_mul_f64 v[12:13], v[114:115], v[24:25]
	v_fmac_f64_e32 v[50:51], v[108:109], v[28:29]
	v_mul_f64 v[28:29], v[110:111], v[28:29]
	v_fma_f64 v[90:91], v[112:113], v[26:27], -v[12:13]
	v_mul_f64 v[12:13], v[142:143], v[38:39]
	v_fma_f64 v[68:69], v[108:109], v[30:31], -v[28:29]
	v_fma_f64 v[28:29], v[140:141], v[40:41], -v[12:13]
	v_mul_f64 v[12:13], v[138:139], v[52:53]
	v_mul_f64 v[78:79], v[126:127], v[34:35]
	v_fma_f64 v[30:31], v[136:137], v[54:55], -v[12:13]
	s_waitcnt lgkmcnt(1)
	v_mul_f64 v[12:13], v[134:135], v[60:61]
	v_fmac_f64_e32 v[78:79], v[124:125], v[32:33]
	v_fma_f64 v[32:33], v[132:133], v[62:63], -v[12:13]
	s_waitcnt lgkmcnt(0)
	v_mul_f64 v[12:13], v[130:131], v[64:65]
	v_fma_f64 v[34:35], v[128:129], v[66:67], -v[12:13]
	v_add_f64 v[12:13], v[0:1], v[50:51]
	v_mul_f64 v[48:49], v[98:99], v[22:23]
	v_add_f64 v[12:13], v[12:13], v[70:71]
	v_fmac_f64_e32 v[48:49], v[96:97], v[20:21]
	v_mul_f64 v[82:83], v[122:123], v[18:19]
	v_add_f64 v[12:13], v[12:13], v[74:75]
	v_fmac_f64_e32 v[82:83], v[120:121], v[16:17]
	v_add_f64 v[16:17], v[12:13], v[48:49]
	v_add_f64 v[12:13], v[70:71], v[74:75]
	v_mul_f64 v[86:87], v[118:119], v[58:59]
	v_mul_f64 v[58:59], v[114:115], v[26:27]
	v_fma_f64 v[12:13], -0.5, v[12:13], v[0:1]
	v_add_f64 v[14:15], v[68:69], -v[76:77]
	v_fmac_f64_e32 v[58:59], v[112:113], v[24:25]
	v_fma_f64 v[20:21], s[10:11], v[14:15], v[12:13]
	v_add_f64 v[18:19], v[72:73], -v[46:47]
	v_add_f64 v[22:23], v[50:51], -v[70:71]
	v_add_f64 v[24:25], v[48:49], -v[74:75]
	v_fmac_f64_e32 v[12:13], s[16:17], v[14:15]
	v_fmac_f64_e32 v[20:21], s[0:1], v[18:19]
	v_add_f64 v[22:23], v[22:23], v[24:25]
	v_fmac_f64_e32 v[12:13], s[18:19], v[18:19]
	v_fmac_f64_e32 v[20:21], s[14:15], v[22:23]
	;; [unrolled: 1-line block ×3, first 2 shown]
	v_add_f64 v[22:23], v[50:51], v[48:49]
	v_fmac_f64_e32 v[0:1], -0.5, v[22:23]
	v_fma_f64 v[24:25], s[16:17], v[18:19], v[0:1]
	v_fmac_f64_e32 v[0:1], s[10:11], v[18:19]
	v_fmac_f64_e32 v[24:25], s[0:1], v[14:15]
	v_fmac_f64_e32 v[0:1], s[18:19], v[14:15]
	v_add_f64 v[14:15], v[2:3], v[68:69]
	v_add_f64 v[14:15], v[14:15], v[72:73]
	;; [unrolled: 1-line block ×3, first 2 shown]
	v_mul_f64 v[36:37], v[142:143], v[40:41]
	v_add_f64 v[22:23], v[70:71], -v[50:51]
	v_add_f64 v[26:27], v[74:75], -v[48:49]
	v_add_f64 v[18:19], v[14:15], v[76:77]
	v_add_f64 v[14:15], v[72:73], v[46:47]
	v_fmac_f64_e32 v[36:37], v[140:141], v[38:39]
	v_mul_f64 v[38:39], v[138:139], v[54:55]
	v_add_f64 v[22:23], v[22:23], v[26:27]
	v_fma_f64 v[14:15], -0.5, v[14:15], v[2:3]
	v_add_f64 v[48:49], v[50:51], -v[48:49]
	v_fmac_f64_e32 v[38:39], v[136:137], v[52:53]
	v_fmac_f64_e32 v[24:25], s[14:15], v[22:23]
	v_fmac_f64_e32 v[0:1], s[14:15], v[22:23]
	v_fma_f64 v[22:23], s[16:17], v[48:49], v[14:15]
	v_add_f64 v[50:51], v[70:71], -v[74:75]
	v_add_f64 v[26:27], v[68:69], -v[72:73]
	;; [unrolled: 1-line block ×3, first 2 shown]
	v_fmac_f64_e32 v[14:15], s[10:11], v[48:49]
	v_fmac_f64_e32 v[22:23], s[18:19], v[50:51]
	v_add_f64 v[26:27], v[26:27], v[52:53]
	v_fmac_f64_e32 v[14:15], s[0:1], v[50:51]
	v_fmac_f64_e32 v[22:23], s[14:15], v[26:27]
	;; [unrolled: 1-line block ×3, first 2 shown]
	v_add_f64 v[26:27], v[68:69], v[76:77]
	v_fmac_f64_e32 v[2:3], -0.5, v[26:27]
	v_fmac_f64_e32 v[86:87], v[116:117], v[56:57]
	v_fma_f64 v[26:27], s[10:11], v[50:51], v[2:3]
	v_fmac_f64_e32 v[2:3], s[16:17], v[50:51]
	v_fmac_f64_e32 v[26:27], s[18:19], v[48:49]
	v_add_f64 v[52:53], v[72:73], -v[68:69]
	v_add_f64 v[46:47], v[46:47], -v[76:77]
	v_fmac_f64_e32 v[2:3], s[0:1], v[48:49]
	v_add_f64 v[48:49], v[82:83], v[86:87]
	v_mul_f64 v[40:41], v[134:135], v[62:63]
	v_add_f64 v[46:47], v[52:53], v[46:47]
	v_fma_f64 v[52:53], -0.5, v[48:49], v[4:5]
	v_add_f64 v[48:49], v[80:81], -v[90:91]
	v_fmac_f64_e32 v[40:41], v[132:133], v[60:61]
	v_fma_f64 v[56:57], s[10:11], v[48:49], v[52:53]
	v_add_f64 v[50:51], v[84:85], -v[88:89]
	v_add_f64 v[54:55], v[78:79], -v[82:83]
	;; [unrolled: 1-line block ×3, first 2 shown]
	v_fmac_f64_e32 v[52:53], s[16:17], v[48:49]
	v_fmac_f64_e32 v[56:57], s[0:1], v[50:51]
	v_add_f64 v[54:55], v[54:55], v[60:61]
	v_fmac_f64_e32 v[52:53], s[18:19], v[50:51]
	v_fmac_f64_e32 v[56:57], s[14:15], v[54:55]
	;; [unrolled: 1-line block ×3, first 2 shown]
	v_add_f64 v[54:55], v[78:79], v[58:59]
	v_fmac_f64_e32 v[26:27], s[14:15], v[46:47]
	v_fmac_f64_e32 v[2:3], s[14:15], v[46:47]
	v_add_f64 v[46:47], v[4:5], v[78:79]
	v_fmac_f64_e32 v[4:5], -0.5, v[54:55]
	v_fma_f64 v[60:61], s[16:17], v[50:51], v[4:5]
	v_add_f64 v[54:55], v[82:83], -v[78:79]
	v_add_f64 v[62:63], v[86:87], -v[58:59]
	v_fmac_f64_e32 v[4:5], s[10:11], v[50:51]
	v_add_f64 v[46:47], v[46:47], v[82:83]
	v_fmac_f64_e32 v[60:61], s[0:1], v[48:49]
	v_add_f64 v[54:55], v[54:55], v[62:63]
	;; [unrolled: 2-line block ×3, first 2 shown]
	v_mul_f64 v[42:43], v[130:131], v[66:67]
	v_add_f64 v[46:47], v[46:47], v[86:87]
	v_fmac_f64_e32 v[60:61], s[14:15], v[54:55]
	v_fmac_f64_e32 v[4:5], s[14:15], v[54:55]
	v_fma_f64 v[54:55], -0.5, v[50:51], v[6:7]
	v_add_f64 v[50:51], v[78:79], -v[58:59]
	v_fmac_f64_e32 v[42:43], v[128:129], v[64:65]
	v_add_f64 v[46:47], v[46:47], v[58:59]
	v_fma_f64 v[58:59], s[16:17], v[50:51], v[54:55]
	v_add_f64 v[64:65], v[82:83], -v[86:87]
	v_add_f64 v[62:63], v[80:81], -v[84:85]
	;; [unrolled: 1-line block ×3, first 2 shown]
	v_fmac_f64_e32 v[54:55], s[10:11], v[50:51]
	v_fmac_f64_e32 v[58:59], s[18:19], v[64:65]
	v_add_f64 v[62:63], v[62:63], v[66:67]
	v_fmac_f64_e32 v[54:55], s[0:1], v[64:65]
	v_fmac_f64_e32 v[58:59], s[14:15], v[62:63]
	;; [unrolled: 1-line block ×3, first 2 shown]
	v_add_f64 v[62:63], v[80:81], v[90:91]
	v_add_f64 v[48:49], v[6:7], v[80:81]
	v_fmac_f64_e32 v[6:7], -0.5, v[62:63]
	v_fma_f64 v[62:63], s[10:11], v[64:65], v[6:7]
	v_fmac_f64_e32 v[6:7], s[16:17], v[64:65]
	v_fmac_f64_e32 v[62:63], s[18:19], v[50:51]
	;; [unrolled: 1-line block ×3, first 2 shown]
	v_add_f64 v[50:51], v[8:9], v[36:37]
	v_add_f64 v[50:51], v[50:51], v[38:39]
	;; [unrolled: 1-line block ×3, first 2 shown]
	v_add_f64 v[66:67], v[84:85], -v[80:81]
	v_add_f64 v[68:69], v[88:89], -v[90:91]
	v_add_f64 v[64:65], v[50:51], v[42:43]
	v_add_f64 v[50:51], v[38:39], v[40:41]
	;; [unrolled: 1-line block ×3, first 2 shown]
	v_fma_f64 v[68:69], -0.5, v[50:51], v[8:9]
	v_add_f64 v[50:51], v[28:29], -v[34:35]
	v_fmac_f64_e32 v[62:63], s[14:15], v[66:67]
	v_fmac_f64_e32 v[6:7], s[14:15], v[66:67]
	v_fma_f64 v[72:73], s[10:11], v[50:51], v[68:69]
	v_add_f64 v[66:67], v[30:31], -v[32:33]
	v_add_f64 v[70:71], v[36:37], -v[38:39]
	;; [unrolled: 1-line block ×3, first 2 shown]
	v_fmac_f64_e32 v[68:69], s[16:17], v[50:51]
	v_fmac_f64_e32 v[72:73], s[0:1], v[66:67]
	v_add_f64 v[70:71], v[70:71], v[74:75]
	v_fmac_f64_e32 v[68:69], s[18:19], v[66:67]
	v_fmac_f64_e32 v[72:73], s[14:15], v[70:71]
	;; [unrolled: 1-line block ×3, first 2 shown]
	v_add_f64 v[70:71], v[36:37], v[42:43]
	v_fmac_f64_e32 v[8:9], -0.5, v[70:71]
	v_fma_f64 v[76:77], s[16:17], v[66:67], v[8:9]
	v_fmac_f64_e32 v[8:9], s[10:11], v[66:67]
	v_fmac_f64_e32 v[76:77], s[0:1], v[50:51]
	;; [unrolled: 1-line block ×3, first 2 shown]
	v_add_f64 v[50:51], v[10:11], v[28:29]
	v_add_f64 v[50:51], v[50:51], v[30:31]
	v_add_f64 v[70:71], v[38:39], -v[36:37]
	v_add_f64 v[74:75], v[40:41], -v[42:43]
	v_add_f64 v[50:51], v[50:51], v[32:33]
	v_add_f64 v[70:71], v[70:71], v[74:75]
	v_add_f64 v[66:67], v[50:51], v[34:35]
	v_add_f64 v[50:51], v[30:31], v[32:33]
	v_fmac_f64_e32 v[76:77], s[14:15], v[70:71]
	v_fmac_f64_e32 v[8:9], s[14:15], v[70:71]
	v_fma_f64 v[70:71], -0.5, v[50:51], v[10:11]
	v_add_f64 v[36:37], v[36:37], -v[42:43]
	v_fma_f64 v[74:75], s[16:17], v[36:37], v[70:71]
	v_add_f64 v[38:39], v[38:39], -v[40:41]
	v_add_f64 v[40:41], v[28:29], -v[30:31]
	;; [unrolled: 1-line block ×3, first 2 shown]
	v_fmac_f64_e32 v[70:71], s[10:11], v[36:37]
	v_fmac_f64_e32 v[74:75], s[18:19], v[38:39]
	v_add_f64 v[40:41], v[40:41], v[42:43]
	v_fmac_f64_e32 v[70:71], s[0:1], v[38:39]
	v_fmac_f64_e32 v[74:75], s[14:15], v[40:41]
	;; [unrolled: 1-line block ×3, first 2 shown]
	v_add_f64 v[40:41], v[28:29], v[34:35]
	v_fmac_f64_e32 v[10:11], -0.5, v[40:41]
	v_add_f64 v[48:49], v[48:49], v[84:85]
	v_fma_f64 v[78:79], s[10:11], v[38:39], v[10:11]
	v_add_f64 v[28:29], v[30:31], -v[28:29]
	v_add_f64 v[30:31], v[32:33], -v[34:35]
	v_fmac_f64_e32 v[10:11], s[16:17], v[38:39]
	v_add_f64 v[48:49], v[48:49], v[88:89]
	v_fmac_f64_e32 v[78:79], s[18:19], v[36:37]
	v_add_f64 v[28:29], v[28:29], v[30:31]
	;; [unrolled: 2-line block ×3, first 2 shown]
	v_fmac_f64_e32 v[78:79], s[14:15], v[28:29]
	v_fmac_f64_e32 v[10:11], s[14:15], v[28:29]
	ds_write_b128 v243, v[16:19]
	ds_write_b128 v45, v[20:23] offset:4080
	ds_write_b128 v45, v[24:27] offset:8160
	ds_write_b128 v45, v[0:3] offset:12240
	ds_write_b128 v45, v[12:15] offset:16320
	ds_write_b128 v45, v[46:49] offset:1360
	ds_write_b128 v205, v[56:59] offset:4080
	ds_write_b128 v205, v[60:63] offset:8160
	ds_write_b128 v205, v[4:7] offset:12240
	ds_write_b128 v205, v[52:55] offset:16320
	ds_write_b128 v45, v[64:67] offset:2720
	ds_write_b128 v204, v[72:75] offset:4080
	ds_write_b128 v204, v[76:79] offset:8160
	ds_write_b128 v204, v[8:11] offset:12240
	ds_write_b128 v204, v[68:71] offset:16320
	s_waitcnt lgkmcnt(0)
	s_barrier
	s_and_b64 exec, exec, s[2:3]
	s_cbranch_execz .LBB0_15
; %bb.14:
	global_load_dwordx4 v[0:3], v238, s[8:9]
	v_mad_u64_u32 v[14:15], s[0:1], s6, v242, 0
	ds_read_b128 v[4:7], v243
	ds_read_b128 v[8:11], v45 offset:1200
	v_mov_b32_e32 v18, v15
	v_mad_u64_u32 v[16:17], s[2:3], s4, v240, 0
	v_mad_u64_u32 v[18:19], s[2:3], s7, v242, v[18:19]
	v_mov_b32_e32 v12, s12
	v_mov_b32_e32 v13, s13
	v_mov_b32_e32 v20, v17
	v_mov_b32_e32 v15, v18
	s_mov_b32 s0, 0xe68019b3
	v_mad_u64_u32 v[20:21], s[2:3], s5, v240, v[20:21]
	v_lshl_add_u64 v[12:13], v[14:15], 4, v[12:13]
	s_mov_b32 s1, 0x3f49b34c
	v_mov_b32_e32 v17, v20
	v_lshl_add_u64 v[12:13], v[16:17], 4, v[12:13]
	s_mul_i32 s2, s5, 0x4b0
	v_mov_b32_e32 v239, 0
	s_movk_i32 s3, 0x1000
	s_waitcnt vmcnt(0) lgkmcnt(1)
	v_mul_f64 v[14:15], v[6:7], v[2:3]
	v_mul_f64 v[2:3], v[4:5], v[2:3]
	v_fmac_f64_e32 v[14:15], v[4:5], v[0:1]
	v_fma_f64 v[2:3], v[0:1], v[6:7], -v[2:3]
	v_mul_f64 v[0:1], v[14:15], s[0:1]
	v_mul_f64 v[2:3], v[2:3], s[0:1]
	global_store_dwordx4 v[12:13], v[0:3], off
	global_load_dwordx4 v[4:7], v238, s[8:9] offset:1200
	s_nop 0
	v_mov_b32_e32 v2, 0x4b0
	v_mad_u64_u32 v[0:1], s[6:7], s4, v2, v[12:13]
	v_add_u32_e32 v1, s2, v1
	v_mad_u64_u32 v[16:17], s[6:7], s4, v2, v[0:1]
	v_add_u32_e32 v17, s2, v17
	s_waitcnt vmcnt(0) lgkmcnt(0)
	v_mul_f64 v[12:13], v[10:11], v[6:7]
	v_mul_f64 v[6:7], v[8:9], v[6:7]
	v_fmac_f64_e32 v[12:13], v[8:9], v[4:5]
	v_fma_f64 v[6:7], v[4:5], v[10:11], -v[6:7]
	v_mul_f64 v[4:5], v[12:13], s[0:1]
	v_mul_f64 v[6:7], v[6:7], s[0:1]
	global_store_dwordx4 v[0:1], v[4:7], off
	global_load_dwordx4 v[4:7], v238, s[8:9] offset:2400
	ds_read_b128 v[8:11], v45 offset:2400
	ds_read_b128 v[12:15], v45 offset:3600
	s_waitcnt vmcnt(0) lgkmcnt(1)
	v_mul_f64 v[0:1], v[10:11], v[6:7]
	v_mul_f64 v[6:7], v[8:9], v[6:7]
	v_fmac_f64_e32 v[0:1], v[8:9], v[4:5]
	v_fma_f64 v[6:7], v[4:5], v[10:11], -v[6:7]
	v_mul_f64 v[4:5], v[0:1], s[0:1]
	v_mul_f64 v[6:7], v[6:7], s[0:1]
	global_store_dwordx4 v[16:17], v[4:7], off
	global_load_dwordx4 v[4:7], v238, s[8:9] offset:3600
	v_lshl_add_u64 v[0:1], s[8:9], 0, v[238:239]
	v_mad_u64_u32 v[16:17], s[6:7], s4, v2, v[16:17]
	v_add_co_u32_e32 v18, vcc, s3, v0
	v_add_u32_e32 v17, s2, v17
	s_nop 0
	v_addc_co_u32_e32 v19, vcc, 0, v1, vcc
	s_movk_i32 s3, 0x2000
	s_waitcnt vmcnt(0) lgkmcnt(0)
	v_mul_f64 v[8:9], v[14:15], v[6:7]
	v_mul_f64 v[6:7], v[12:13], v[6:7]
	v_fmac_f64_e32 v[8:9], v[12:13], v[4:5]
	v_fma_f64 v[6:7], v[4:5], v[14:15], -v[6:7]
	v_mul_f64 v[4:5], v[8:9], s[0:1]
	v_mul_f64 v[6:7], v[6:7], s[0:1]
	global_store_dwordx4 v[16:17], v[4:7], off
	global_load_dwordx4 v[4:7], v[18:19], off offset:704
	ds_read_b128 v[8:11], v45 offset:4800
	ds_read_b128 v[12:15], v45 offset:6000
	v_mad_u64_u32 v[16:17], s[6:7], s4, v2, v[16:17]
	v_add_u32_e32 v17, s2, v17
	s_waitcnt vmcnt(0) lgkmcnt(1)
	v_mul_f64 v[20:21], v[10:11], v[6:7]
	v_mul_f64 v[6:7], v[8:9], v[6:7]
	v_fmac_f64_e32 v[20:21], v[8:9], v[4:5]
	v_fma_f64 v[6:7], v[4:5], v[10:11], -v[6:7]
	v_mul_f64 v[4:5], v[20:21], s[0:1]
	v_mul_f64 v[6:7], v[6:7], s[0:1]
	global_store_dwordx4 v[16:17], v[4:7], off
	global_load_dwordx4 v[4:7], v[18:19], off offset:1904
	v_mad_u64_u32 v[16:17], s[6:7], s4, v2, v[16:17]
	v_add_u32_e32 v17, s2, v17
	s_waitcnt vmcnt(0) lgkmcnt(0)
	v_mul_f64 v[8:9], v[14:15], v[6:7]
	v_mul_f64 v[6:7], v[12:13], v[6:7]
	v_fmac_f64_e32 v[8:9], v[12:13], v[4:5]
	v_fma_f64 v[6:7], v[4:5], v[14:15], -v[6:7]
	v_mul_f64 v[4:5], v[8:9], s[0:1]
	v_mul_f64 v[6:7], v[6:7], s[0:1]
	global_store_dwordx4 v[16:17], v[4:7], off
	global_load_dwordx4 v[4:7], v[18:19], off offset:3104
	ds_read_b128 v[8:11], v45 offset:7200
	ds_read_b128 v[12:15], v45 offset:8400
	v_mad_u64_u32 v[16:17], s[6:7], s4, v2, v[16:17]
	v_add_co_u32_e32 v18, vcc, s3, v0
	v_add_u32_e32 v17, s2, v17
	s_nop 0
	v_addc_co_u32_e32 v19, vcc, 0, v1, vcc
	s_movk_i32 s3, 0x3000
	s_waitcnt vmcnt(0) lgkmcnt(1)
	v_mul_f64 v[20:21], v[10:11], v[6:7]
	v_mul_f64 v[6:7], v[8:9], v[6:7]
	v_fmac_f64_e32 v[20:21], v[8:9], v[4:5]
	v_fma_f64 v[6:7], v[4:5], v[10:11], -v[6:7]
	v_mul_f64 v[4:5], v[20:21], s[0:1]
	v_mul_f64 v[6:7], v[6:7], s[0:1]
	global_store_dwordx4 v[16:17], v[4:7], off
	global_load_dwordx4 v[4:7], v[18:19], off offset:208
	v_mad_u64_u32 v[16:17], s[6:7], s4, v2, v[16:17]
	v_add_u32_e32 v17, s2, v17
	s_waitcnt vmcnt(0) lgkmcnt(0)
	v_mul_f64 v[8:9], v[14:15], v[6:7]
	v_mul_f64 v[6:7], v[12:13], v[6:7]
	v_fmac_f64_e32 v[8:9], v[12:13], v[4:5]
	v_fma_f64 v[6:7], v[4:5], v[14:15], -v[6:7]
	v_mul_f64 v[4:5], v[8:9], s[0:1]
	v_mul_f64 v[6:7], v[6:7], s[0:1]
	global_store_dwordx4 v[16:17], v[4:7], off
	global_load_dwordx4 v[4:7], v[18:19], off offset:1408
	ds_read_b128 v[8:11], v45 offset:9600
	ds_read_b128 v[12:15], v45 offset:10800
	v_mad_u64_u32 v[16:17], s[6:7], s4, v2, v[16:17]
	v_add_u32_e32 v17, s2, v17
	s_waitcnt vmcnt(0) lgkmcnt(1)
	v_mul_f64 v[20:21], v[10:11], v[6:7]
	v_mul_f64 v[6:7], v[8:9], v[6:7]
	v_fmac_f64_e32 v[20:21], v[8:9], v[4:5]
	v_fma_f64 v[6:7], v[4:5], v[10:11], -v[6:7]
	v_mul_f64 v[4:5], v[20:21], s[0:1]
	v_mul_f64 v[6:7], v[6:7], s[0:1]
	global_store_dwordx4 v[16:17], v[4:7], off
	global_load_dwordx4 v[4:7], v[18:19], off offset:2608
	v_mad_u64_u32 v[16:17], s[6:7], s4, v2, v[16:17]
	v_add_u32_e32 v17, s2, v17
	s_waitcnt vmcnt(0) lgkmcnt(0)
	v_mul_f64 v[8:9], v[14:15], v[6:7]
	v_mul_f64 v[6:7], v[12:13], v[6:7]
	v_fmac_f64_e32 v[8:9], v[12:13], v[4:5]
	v_fma_f64 v[6:7], v[4:5], v[14:15], -v[6:7]
	v_mul_f64 v[4:5], v[8:9], s[0:1]
	v_mul_f64 v[6:7], v[6:7], s[0:1]
	global_store_dwordx4 v[16:17], v[4:7], off
	global_load_dwordx4 v[4:7], v[18:19], off offset:3808
	ds_read_b128 v[8:11], v45 offset:12000
	ds_read_b128 v[12:15], v45 offset:13200
	v_mad_u64_u32 v[16:17], s[6:7], s4, v2, v[16:17]
	v_add_co_u32_e32 v18, vcc, s3, v0
	v_add_u32_e32 v17, s2, v17
	s_nop 0
	v_addc_co_u32_e32 v19, vcc, 0, v1, vcc
	s_movk_i32 s3, 0x4000
	v_add_co_u32_e32 v0, vcc, s3, v0
	s_waitcnt vmcnt(0) lgkmcnt(1)
	v_mul_f64 v[20:21], v[10:11], v[6:7]
	v_mul_f64 v[6:7], v[8:9], v[6:7]
	v_fmac_f64_e32 v[20:21], v[8:9], v[4:5]
	v_fma_f64 v[6:7], v[4:5], v[10:11], -v[6:7]
	v_mul_f64 v[4:5], v[20:21], s[0:1]
	v_mul_f64 v[6:7], v[6:7], s[0:1]
	global_store_dwordx4 v[16:17], v[4:7], off
	global_load_dwordx4 v[4:7], v[18:19], off offset:912
	v_mad_u64_u32 v[16:17], s[6:7], s4, v2, v[16:17]
	v_add_u32_e32 v17, s2, v17
	v_addc_co_u32_e32 v1, vcc, 0, v1, vcc
	s_waitcnt vmcnt(0) lgkmcnt(0)
	v_mul_f64 v[8:9], v[14:15], v[6:7]
	v_mul_f64 v[6:7], v[12:13], v[6:7]
	v_fmac_f64_e32 v[8:9], v[12:13], v[4:5]
	v_fma_f64 v[6:7], v[4:5], v[14:15], -v[6:7]
	v_mul_f64 v[4:5], v[8:9], s[0:1]
	v_mul_f64 v[6:7], v[6:7], s[0:1]
	global_store_dwordx4 v[16:17], v[4:7], off
	global_load_dwordx4 v[4:7], v[18:19], off offset:2112
	ds_read_b128 v[8:11], v45 offset:14400
	ds_read_b128 v[12:15], v45 offset:15600
	v_mad_u64_u32 v[16:17], s[6:7], s4, v2, v[16:17]
	v_add_u32_e32 v17, s2, v17
	s_waitcnt vmcnt(0) lgkmcnt(1)
	v_mul_f64 v[20:21], v[10:11], v[6:7]
	v_mul_f64 v[6:7], v[8:9], v[6:7]
	v_fmac_f64_e32 v[20:21], v[8:9], v[4:5]
	v_fma_f64 v[6:7], v[4:5], v[10:11], -v[6:7]
	v_mul_f64 v[4:5], v[20:21], s[0:1]
	v_mul_f64 v[6:7], v[6:7], s[0:1]
	global_store_dwordx4 v[16:17], v[4:7], off
	global_load_dwordx4 v[4:7], v[18:19], off offset:3312
	v_mad_u64_u32 v[16:17], s[6:7], s4, v2, v[16:17]
	v_add_u32_e32 v17, s2, v17
	s_waitcnt vmcnt(0) lgkmcnt(0)
	v_mul_f64 v[8:9], v[14:15], v[6:7]
	v_mul_f64 v[6:7], v[12:13], v[6:7]
	v_fmac_f64_e32 v[8:9], v[12:13], v[4:5]
	v_fma_f64 v[6:7], v[4:5], v[14:15], -v[6:7]
	v_mul_f64 v[4:5], v[8:9], s[0:1]
	v_mul_f64 v[6:7], v[6:7], s[0:1]
	global_store_dwordx4 v[16:17], v[4:7], off
	global_load_dwordx4 v[4:7], v[0:1], off offset:416
	ds_read_b128 v[8:11], v45 offset:16800
	ds_read_b128 v[12:15], v45 offset:18000
	v_mad_u64_u32 v[16:17], s[6:7], s4, v2, v[16:17]
	v_add_u32_e32 v17, s2, v17
	s_waitcnt vmcnt(0) lgkmcnt(1)
	v_mul_f64 v[18:19], v[10:11], v[6:7]
	v_mul_f64 v[6:7], v[8:9], v[6:7]
	v_fmac_f64_e32 v[18:19], v[8:9], v[4:5]
	v_fma_f64 v[6:7], v[4:5], v[10:11], -v[6:7]
	v_mul_f64 v[4:5], v[18:19], s[0:1]
	v_mul_f64 v[6:7], v[6:7], s[0:1]
	global_store_dwordx4 v[16:17], v[4:7], off
	global_load_dwordx4 v[4:7], v[0:1], off offset:1616
	v_mad_u64_u32 v[16:17], s[6:7], s4, v2, v[16:17]
	v_add_u32_e32 v17, s2, v17
	s_waitcnt vmcnt(0) lgkmcnt(0)
	v_mul_f64 v[8:9], v[14:15], v[6:7]
	v_mul_f64 v[6:7], v[12:13], v[6:7]
	v_fmac_f64_e32 v[8:9], v[12:13], v[4:5]
	v_fma_f64 v[6:7], v[4:5], v[14:15], -v[6:7]
	v_mul_f64 v[4:5], v[8:9], s[0:1]
	v_mul_f64 v[6:7], v[6:7], s[0:1]
	global_store_dwordx4 v[16:17], v[4:7], off
	global_load_dwordx4 v[4:7], v[0:1], off offset:2816
	ds_read_b128 v[8:11], v45 offset:19200
	v_mad_u64_u32 v[12:13], s[4:5], s4, v2, v[16:17]
	v_add_u32_e32 v13, s2, v13
	s_waitcnt vmcnt(0) lgkmcnt(0)
	v_mul_f64 v[0:1], v[10:11], v[6:7]
	v_mul_f64 v[2:3], v[8:9], v[6:7]
	v_fmac_f64_e32 v[0:1], v[8:9], v[4:5]
	v_fma_f64 v[2:3], v[4:5], v[10:11], -v[2:3]
	v_mul_f64 v[0:1], v[0:1], s[0:1]
	v_mul_f64 v[2:3], v[2:3], s[0:1]
	global_store_dwordx4 v[12:13], v[0:3], off
.LBB0_15:
	s_endpgm
	.section	.rodata,"a",@progbits
	.p2align	6, 0x0
	.amdhsa_kernel bluestein_single_back_len1275_dim1_dp_op_CI_CI
		.amdhsa_group_segment_fixed_size 61200
		.amdhsa_private_segment_fixed_size 0
		.amdhsa_kernarg_size 104
		.amdhsa_user_sgpr_count 2
		.amdhsa_user_sgpr_dispatch_ptr 0
		.amdhsa_user_sgpr_queue_ptr 0
		.amdhsa_user_sgpr_kernarg_segment_ptr 1
		.amdhsa_user_sgpr_dispatch_id 0
		.amdhsa_user_sgpr_kernarg_preload_length 0
		.amdhsa_user_sgpr_kernarg_preload_offset 0
		.amdhsa_user_sgpr_private_segment_size 0
		.amdhsa_uses_dynamic_stack 0
		.amdhsa_enable_private_segment 0
		.amdhsa_system_sgpr_workgroup_id_x 1
		.amdhsa_system_sgpr_workgroup_id_y 0
		.amdhsa_system_sgpr_workgroup_id_z 0
		.amdhsa_system_sgpr_workgroup_info 0
		.amdhsa_system_vgpr_workitem_id 0
		.amdhsa_next_free_vgpr 384
		.amdhsa_next_free_sgpr 62
		.amdhsa_accum_offset 256
		.amdhsa_reserve_vcc 1
		.amdhsa_float_round_mode_32 0
		.amdhsa_float_round_mode_16_64 0
		.amdhsa_float_denorm_mode_32 3
		.amdhsa_float_denorm_mode_16_64 3
		.amdhsa_dx10_clamp 1
		.amdhsa_ieee_mode 1
		.amdhsa_fp16_overflow 0
		.amdhsa_tg_split 0
		.amdhsa_exception_fp_ieee_invalid_op 0
		.amdhsa_exception_fp_denorm_src 0
		.amdhsa_exception_fp_ieee_div_zero 0
		.amdhsa_exception_fp_ieee_overflow 0
		.amdhsa_exception_fp_ieee_underflow 0
		.amdhsa_exception_fp_ieee_inexact 0
		.amdhsa_exception_int_div_zero 0
	.end_amdhsa_kernel
	.text
.Lfunc_end0:
	.size	bluestein_single_back_len1275_dim1_dp_op_CI_CI, .Lfunc_end0-bluestein_single_back_len1275_dim1_dp_op_CI_CI
                                        ; -- End function
	.section	.AMDGPU.csdata,"",@progbits
; Kernel info:
; codeLenInByte = 28788
; NumSgprs: 68
; NumVgprs: 256
; NumAgprs: 128
; TotalNumVgprs: 384
; ScratchSize: 0
; MemoryBound: 0
; FloatMode: 240
; IeeeMode: 1
; LDSByteSize: 61200 bytes/workgroup (compile time only)
; SGPRBlocks: 8
; VGPRBlocks: 47
; NumSGPRsForWavesPerEU: 68
; NumVGPRsForWavesPerEU: 384
; AccumOffset: 256
; Occupancy: 1
; WaveLimiterHint : 1
; COMPUTE_PGM_RSRC2:SCRATCH_EN: 0
; COMPUTE_PGM_RSRC2:USER_SGPR: 2
; COMPUTE_PGM_RSRC2:TRAP_HANDLER: 0
; COMPUTE_PGM_RSRC2:TGID_X_EN: 1
; COMPUTE_PGM_RSRC2:TGID_Y_EN: 0
; COMPUTE_PGM_RSRC2:TGID_Z_EN: 0
; COMPUTE_PGM_RSRC2:TIDIG_COMP_CNT: 0
; COMPUTE_PGM_RSRC3_GFX90A:ACCUM_OFFSET: 63
; COMPUTE_PGM_RSRC3_GFX90A:TG_SPLIT: 0
	.text
	.p2alignl 6, 3212836864
	.fill 256, 4, 3212836864
	.type	__hip_cuid_99b0b84d0b2eb57a,@object ; @__hip_cuid_99b0b84d0b2eb57a
	.section	.bss,"aw",@nobits
	.globl	__hip_cuid_99b0b84d0b2eb57a
__hip_cuid_99b0b84d0b2eb57a:
	.byte	0                               ; 0x0
	.size	__hip_cuid_99b0b84d0b2eb57a, 1

	.ident	"AMD clang version 19.0.0git (https://github.com/RadeonOpenCompute/llvm-project roc-6.4.0 25133 c7fe45cf4b819c5991fe208aaa96edf142730f1d)"
	.section	".note.GNU-stack","",@progbits
	.addrsig
	.addrsig_sym __hip_cuid_99b0b84d0b2eb57a
	.amdgpu_metadata
---
amdhsa.kernels:
  - .agpr_count:     128
    .args:
      - .actual_access:  read_only
        .address_space:  global
        .offset:         0
        .size:           8
        .value_kind:     global_buffer
      - .actual_access:  read_only
        .address_space:  global
        .offset:         8
        .size:           8
        .value_kind:     global_buffer
      - .actual_access:  read_only
        .address_space:  global
        .offset:         16
        .size:           8
        .value_kind:     global_buffer
      - .actual_access:  read_only
        .address_space:  global
        .offset:         24
        .size:           8
        .value_kind:     global_buffer
      - .actual_access:  read_only
        .address_space:  global
        .offset:         32
        .size:           8
        .value_kind:     global_buffer
      - .offset:         40
        .size:           8
        .value_kind:     by_value
      - .address_space:  global
        .offset:         48
        .size:           8
        .value_kind:     global_buffer
      - .address_space:  global
        .offset:         56
        .size:           8
        .value_kind:     global_buffer
      - .address_space:  global
        .offset:         64
        .size:           8
        .value_kind:     global_buffer
      - .address_space:  global
        .offset:         72
        .size:           8
        .value_kind:     global_buffer
      - .offset:         80
        .size:           4
        .value_kind:     by_value
      - .address_space:  global
        .offset:         88
        .size:           8
        .value_kind:     global_buffer
      - .address_space:  global
        .offset:         96
        .size:           8
        .value_kind:     global_buffer
    .group_segment_fixed_size: 61200
    .kernarg_segment_align: 8
    .kernarg_segment_size: 104
    .language:       OpenCL C
    .language_version:
      - 2
      - 0
    .max_flat_workgroup_size: 255
    .name:           bluestein_single_back_len1275_dim1_dp_op_CI_CI
    .private_segment_fixed_size: 0
    .sgpr_count:     68
    .sgpr_spill_count: 0
    .symbol:         bluestein_single_back_len1275_dim1_dp_op_CI_CI.kd
    .uniform_work_group_size: 1
    .uses_dynamic_stack: false
    .vgpr_count:     384
    .vgpr_spill_count: 2
    .wavefront_size: 64
amdhsa.target:   amdgcn-amd-amdhsa--gfx950
amdhsa.version:
  - 1
  - 2
...

	.end_amdgpu_metadata
